;; amdgpu-corpus repo=ROCm/hipBLASLt kind=harvested arch=n/a opt=n/a

/******************************************/
/* Begin Kernel                           */
/******************************************/
.amdgcn_target "amdgcn-amd-amdhsa--gfx942"
.text
.protected CustomGSUs_Cijk_Ailk_Bljk_F8NH_HHS_BH_Bias_AS_SAB_SAV_MT128x16x128_MI16x16x1_44_Freesize_gfx942
.globl CustomGSUs_Cijk_Ailk_Bljk_F8NH_HHS_BH_Bias_AS_SAB_SAV_MT128x16x128_MI16x16x1_44_Freesize_gfx942
.p2align 8
.type CustomGSUs_Cijk_Ailk_Bljk_F8NH_HHS_BH_Bias_AS_SAB_SAV_MT128x16x128_MI16x16x1_44_Freesize_gfx942,@function
.section .rodata,#alloc
.p2align 6
.amdhsa_kernel CustomGSUs_Cijk_Ailk_Bljk_F8NH_HHS_BH_Bias_AS_SAB_SAV_MT128x16x128_MI16x16x1_44_Freesize_gfx942
  .amdhsa_user_sgpr_kernarg_segment_ptr 1
  .amdhsa_accum_offset 248 // accvgpr offset
  .amdhsa_next_free_vgpr 256 // vgprs
  .amdhsa_next_free_sgpr 100 // sgprs
  .amdhsa_group_segment_fixed_size 4608 // lds bytes
  .amdhsa_private_segment_fixed_size 0
  .amdhsa_system_sgpr_workgroup_id_x 1
  .amdhsa_system_sgpr_workgroup_id_y 1
  .amdhsa_system_sgpr_workgroup_id_z 1
  .amdhsa_system_vgpr_workitem_id 0
  .amdhsa_float_denorm_mode_32 3
  .amdhsa_float_denorm_mode_16_64 3
  .amdhsa_user_sgpr_count 13
  .amdhsa_user_sgpr_kernarg_preload_length 11
  .amdhsa_user_sgpr_kernarg_preload_offset 0
.end_amdhsa_kernel
.text
/* Num VGPR   =248 */
/* Num AccVGPR=8 */
/* Num SGPR   =100 */

/******************************************/
/* Optimizations and Config:              */
/******************************************/
/* ThreadTile= 8 x 1 */
/* SubGroup= 16 x 16 */
/* VectorWidthA=2 */
/* VectorWidthB=1 */
/* GlobalReadVectorWidthA=2, GlobalReadVectorWidthB=8 */
/* DirectToLdsA=False */
/* DirectToLdsB=False */
/* UseSgprForGRO=0 */
.amdgpu_metadata
---
custom.config:
   ProblemType:
      OperationType: GEMM
      DataTypeA: f8n
      DataTypeB: h
      UseScaleAB: "Scalar"
      DataType: h
      DestDataType: h
      ComputeDataType: s
      HighPrecisionAccumulate: True
      TransposeA: False
      TransposeB: False
      UseBeta: True
      Batched: True
      UseBias: 1
      Activation: True
      UseScaleAlphaVec: 1
      SupportUserArgs: False
   1LDSBuffer: 1
   DepthU: 128
   StaggerU: 4
   WorkGroupMapping: 1
   WaveSeparateGlobalReadA: 0
   WaveSeparateGlobalReadB: 0
   GlobalReadVectorWidthA: 2
   GlobalReadVectorWidthB: 8
   AssertFree0ElementMultiple: 2
   AssertSummationElementMultiple: 1
   InternalSupportParams: {KernArgsVersion: 0, SupportCustomWGM: True, SupportUserGSU: True, SupportCustomStaggerU: True, UseUniversalArgs: False}
   PreloadKernArgs: 1
   NoReject: 1
amdhsa.version:
  - 1
  - 1
amdhsa.kernels:
  - .name: CustomGSUs_Cijk_Ailk_Bljk_F8NH_HHS_BH_Bias_AS_SAB_SAV_MT128x16x128_MI16x16x1_44_Freesize_gfx942
    .symbol: 'CustomGSUs_Cijk_Ailk_Bljk_F8NH_HHS_BH_Bias_AS_SAB_SAV_MT128x16x128_MI16x16x1_44_Freesize_gfx942.kd'
    .language:                   OpenCL C
    .language_version:
      - 2
      - 0
    .args:
      - .name:            SizesFree0
        .size:            4
        .offset:          0
        .value_kind:      by_value
        .value_type:      u32
      - .name:            SizesFree1
        .size:            4
        .offset:          4
        .value_kind:      by_value
        .value_type:      u32
      - .name:            SizesFree2
        .size:            4
        .offset:          8
        .value_kind:      by_value
        .value_type:      u32
      - .name:            SizesSum0
        .size:            4
        .offset:          12
        .value_kind:      by_value
        .value_type:      u32
      - .name:            D
        .size:            8
        .offset:          16
        .value_kind:      global_buffer
        .value_type:      f16
        .address_space:   generic
      - .name:            C
        .size:            8
        .offset:          24
        .value_kind:      global_buffer
        .value_type:      f16
        .address_space:   generic
      - .name:            A
        .size:            8
        .offset:          32
        .value_kind:      global_buffer
        .value_type:      f16
        .address_space:   generic
      - .name:            B
        .size:            8
        .offset:          40
        .value_kind:      global_buffer
        .value_type:      f16
        .address_space:   generic
      - .name:            strideD0
        .size:            4
        .offset:          48
        .value_kind:      by_value
        .value_type:      u32
      - .name:            strideD1
        .size:            4
        .offset:          52
        .value_kind:      by_value
        .value_type:      u32
      - .name:            strideC0
        .size:            4
        .offset:          56
        .value_kind:      by_value
        .value_type:      u32
      - .name:            strideC1
        .size:            4
        .offset:          60
        .value_kind:      by_value
        .value_type:      u32
      - .name:            strideA0
        .size:            4
        .offset:          64
        .value_kind:      by_value
        .value_type:      u32
      - .name:            strideA1
        .size:            4
        .offset:          68
        .value_kind:      by_value
        .value_type:      u32
      - .name:            strideB0
        .size:            4
        .offset:          72
        .value_kind:      by_value
        .value_type:      u32
      - .name:            strideB1
        .size:            4
        .offset:          76
        .value_kind:      by_value
        .value_type:      u32
      - .name:            alpha
        .size:            4
        .offset:          80
        .value_kind:      by_value
        .value_type:      f32
      - .name:            beta
        .size:            4
        .offset:          84
        .value_kind:      by_value
        .value_type:      f32
      - .name:            internalArgs
        .size:            4
        .offset:          88
        .value_kind:      by_value
        .value_type:      u32
      - .name:            AddressScaleA
        .size:            8
        .offset:          92
        .value_kind:      global_buffer
        .value_type:      f32
        .address_space:   generic
      - .name:            AddressScaleB
        .size:            8
        .offset:          100
        .value_kind:      global_buffer
        .value_type:      f32
        .address_space:   generic
      - .name:            AddressScaleAlphaVec
        .size:            8
        .offset:          108
        .value_kind:      global_buffer
        .value_type:      f32
        .address_space:   generic
      - .name:            bias
        .size:            8
        .offset:          116
        .value_kind:      global_buffer
        .value_type:      void
        .address_space:   generic
      - .name:            biasType
        .size:            4
        .offset:          124
        .value_kind:      by_value
        .value_type:      u32
      - .name:            StrideBias
        .size:            4
        .offset:          128
        .value_kind:      by_value
        .value_type:      u32
      - .name:            activationAlpha
        .size:            4
        .offset:          132
        .value_kind:      by_value
        .value_type:      f32
      - .name:            activationBeta
        .size:            4
        .offset:          136
        .value_kind:      by_value
        .value_type:      f32
      - .name:            activationType
        .size:            4
        .offset:          140
        .value_kind:      by_value
        .value_type:      u32
      - .name:            dstD
        .size:            8
        .offset:          144
        .value_kind:      global_buffer
        .value_type:      f16
        .address_space:   generic
      - .name:            Synchronizer
        .size:            8
        .offset:          152
        .value_kind:      global_buffer
        .value_type:      f32
        .address_space:   generic
      - .name:            GSUSync
        .size:            4
        .offset:          160
        .value_kind:      by_value
        .value_type:      u32
    .group_segment_fixed_size:   4608
    .kernarg_segment_align:      8
    .kernarg_segment_size:       168
    .max_flat_workgroup_size:    256
    .private_segment_fixed_size: 0
    .sgpr_count:                 100
    .sgpr_spill_count:           0
    .vgpr_count:                 248
    .vgpr_spill_count:           0
    .wavefront_size:             64
...
.end_amdgpu_metadata
CustomGSUs_Cijk_Ailk_Bljk_F8NH_HHS_BH_Bias_AS_SAB_SAV_MT128x16x128_MI16x16x1_44_Freesize_gfx942:
.long 0xC0120700, 0x00000000
.long 0xC00A0B00, 0x00000040
	;; [unrolled: 1-line block ×4, first 2 shown]
.long 0xBF82004A
.long 0xBF800000
.long 0xBF800000
.long 0xBF800000
.long 0xBF800000
.long 0xBF800000
.long 0xBF800000
.long 0xBF800000
.long 0xBF800000
.long 0xBF800000
.long 0xBF800000
.long 0xBF800000
.long 0xBF800000
.long 0xBF800000
.long 0xBF800000
.long 0xBF800000
.long 0xBF800000
.long 0xBF800000
.long 0xBF800000
.long 0xBF800000
.long 0xBF800000
.long 0xBF800000
.long 0xBF800000
.long 0xBF800000
.long 0xBF800000
.long 0xBF800000
.long 0xBF800000
.long 0xBF800000
.long 0xBF800000
.long 0xBF800000
.long 0xBF800000
.long 0xBF800000
.long 0xBF800000
.long 0xBF800000
.long 0xBF800000
.long 0xBF800000
.long 0xBF800000
.long 0xBF800000
.long 0xBF800000
.long 0xBF800000
.long 0xBF800000
.long 0xBF800000
.long 0xBF800000
.long 0xBF800000
.long 0xBF800000
.long 0xBF800000
.long 0xBF800000
.long 0xBF800000
.long 0xBF800000
.long 0xBF800000
.long 0xBF800000
.long 0xBF800000
.long 0xBF800000
.long 0xBF800000
.long 0xBF800000
.long 0xBF800000
.long 0xC00209C0, 0x0000002C
.long 0xC00E0A00, 0x00000030
	;; [unrolled: 1-line block ×4, first 2 shown]
.long 0xBE9C0002
.long 0xBE9D0003
	;; [unrolled: 1-line block ×14, first 2 shown]
.long 0xBEC700FF, 0x05040100
.long 0xBEC800FF, 0x07060302
	;; [unrolled: 1-line block ×3, first 2 shown]
.long 0x7E680300
.long 0x260268BF
	;; [unrolled: 1-line block ×29, first 2 shown]
.long 0xD2850000, 0x00020049
.long 0xD1FE0023, 0x02060300
.long 0x20044688
.long 0x24040485
	;; [unrolled: 1-line block ×11, first 2 shown]
.long 0x104404FF, 0x00000080
.long 0xD1FE0022, 0x02064505
.long 0x200C4488
.long 0x240C0C85
	;; [unrolled: 1-line block ×4, first 2 shown]
.long 0x8609FF32, 0x0000FF00
.long 0x8F098809
.long 0x8633FF32, 0xFFFF0000
.long 0x8F339033
.long 0x8632FF32, 0x000000FF
.long 0x7E1002FF, 0x00000080
.long 0x7E0E021C
.long 0x7E0C0D08
	;; [unrolled: 1-line block ×8, first 2 shown]
.long 0xD0CD006A, 0x00010109
.long 0xD11C6A06, 0x01A90106
.long 0x7E100290
.long 0x7E0E021D
	;; [unrolled: 1-line block ×10, first 2 shown]
.long 0xD0CD006A, 0x00010109
.long 0xD11C6A06, 0x01A90106
.long 0xBF800000
.long 0x7E2A0506
	;; [unrolled: 1-line block ×6, first 2 shown]
.long 0xD042006A, 0x00010030
.long 0xBF860001
.long 0xBE9F0080
	;; [unrolled: 1-line block ×9, first 2 shown]
.long 0xD1080007, 0x00006506
.long 0x6A0E0E03
.long 0xD0DA007E, 0x00006507
.long 0x680C0C81
.long 0x7E0E0280
.long 0xBEFE01C1
.long 0x7E060506
.long 0x7E0C0507
.long 0xBE850081
.long 0xBE880082
.long 0xBF820003
.long 0xBE860180
.long 0xBE850081
.long 0xBE880081
.long 0xBF0B8109
.long 0xBF850035
.long 0x7E0C0C09
.long 0x7E0C4706
.long 0x7E0E0C03
.long 0x0A0C0F06
.long 0x7E0C0F06
.long 0xD1080007, 0x00001306
.long 0x6A0E0E03
.long 0xD0DA007E, 0x00001307
.long 0x680C0C81
.long 0xBEFE01C1
	;; [unrolled: 1-line block ×12, first 2 shown]
.long 0xD1080007, 0x00001306
.long 0x6A0E0E15
.long 0xD0DA007E, 0x00001307
.long 0x680C0C81
.long 0xBEFE01C1
	;; [unrolled: 1-line block ×14, first 2 shown]
.long 0xD1080007, 0x00009506
.long 0x6A0E0E49
.long 0xD0DA007E, 0x00009507
.long 0x680C0C81
.long 0x7E0E0280
	;; [unrolled: 1-line block ×13, first 2 shown]
.long 0xD2850001, 0x00020288
.long 0xD2850001, 0x0002022C
.long 0x68000101
.long 0x20026886
	;; [unrolled: 1-line block ×14, first 2 shown]
.long 0xD1120001, 0x00005885
.long 0x687C6D01
.long 0x687E7D00
	;; [unrolled: 1-line block ×8, first 2 shown]
.long 0xD1120001, 0x00005886
.long 0x688C6D01
.long 0x688E8D00
	;; [unrolled: 1-line block ×8, first 2 shown]
.long 0x7E0402FF, 0x00000060
.long 0xD2850001, 0x0002042C
.long 0x689C6D01
.long 0x689E9D00
	;; [unrolled: 1-line block ×8, first 2 shown]
.long 0xD2850008, 0x00020E2E
.long 0x32AC1128
.long 0x68ACAC88
.long 0x24ACAC81
.long 0x964DFF02, 0x00000080
.long 0x924CFF02, 0x00000080
	;; [unrolled: 1-line block ×4, first 2 shown]
.long 0x964B2C4A
.long 0x924A2C4A
	;; [unrolled: 1-line block ×28, first 2 shown]
.long 0xBEB700FF, 0x00020000
.long 0x964D9003
.long 0x924C9003
	;; [unrolled: 1-line block ×4, first 2 shown]
.long 0x964B06FF, 0x00000080
.long 0x924A06FF, 0x00000080
.long 0x804C4A4C
.long 0x824D4B4D
	;; [unrolled: 1-line block ×28, first 2 shown]
.long 0xBEBB00FF, 0x00020000
.long 0x9249FF32, 0x00000080
.long 0x92452C49
.long 0x9249FF32, 0x00000100
.long 0xBEC60049
.long 0x8F0A871F
	;; [unrolled: 1-line block ×9, first 2 shown]
.long 0xD1080001, 0x00006500
.long 0x6A02020A
.long 0xD0DA007E, 0x00006501
.long 0x68000081
.long 0x7E020280
	;; [unrolled: 1-line block ×9, first 2 shown]
.long 0x864CFF33, 0x00001F00
.long 0x8F4C884C
.long 0x864DFF33, 0x0000E000
.long 0x8633FF33, 0x000000FF
.long 0xBECA0033
.long 0x8E4B4C4A
	;; [unrolled: 1-line block ×13, first 2 shown]
.long 0xBF06FF4D, 0x00002000
.long 0xBF850002
.long 0xBECA0003
.long 0xBF820011
.long 0xBF06FF4D, 0x00004000
.long 0xBF850002
.long 0xBECA00C1
.long 0xBF82000C
	;; [unrolled: 4-line block ×3, first 2 shown]
.long 0x804A024A
.long 0xBF820005
.long 0xBF06FF4D, 0x00008000
.long 0xBF850002
.long 0xBECA00C1
.long 0xBF820000
.long 0x86404A40
.long 0x8E404C40
.long 0x96CB4540
.long 0x924A4540
.long 0x96C2450A
.long 0x9241450A
.long 0x80C14145
.long 0x82C24280
.long 0x80344A34
.long 0x82354B35
.long 0x80BC4A3C
.long 0x82BD4B3D
.long 0xBF06803D
.long 0x8536C13C
.long 0x96CB4640
.long 0x924A4640
.long 0x96C4460A
.long 0x9243460A
.long 0x80C34346
.long 0x82C44480
.long 0x80384A38
.long 0x82394B39
.long 0x80BE4A3E
.long 0x82BF4B3F
.long 0xBF06803F
.long 0x853AC13E
.long 0x80408240
.long 0xBF06800A
.long 0xBF850056
.long 0xE05C1000, 0x800E9856
.long 0xE0901000, 0x800D5836
	;; [unrolled: 1-line block ×33, first 2 shown]
.long 0x804C810A
.long 0xBF064C40
	;; [unrolled: 1-line block ×22, first 2 shown]
.long 0xBE8E00FF, 0x80000000
.long 0xBE8F00FF, 0x00020000
.long 0xBE900022
.long 0xBE910023
.long 0xBE9200FF, 0x80000000
.long 0xBE9300FF, 0x00020000
.long 0x924C0390
.long 0x964B2A4C
	;; [unrolled: 1-line block ×42, first 2 shown]
.long 0xD3D94000, 0x18000080
.long 0xD3D94001, 0x18000080
	;; [unrolled: 1-line block ×8, first 2 shown]
.long 0xBF06800A
.long 0xBF840006
	;; [unrolled: 1-line block ×3, first 2 shown]
.long 0x814C84FF, 0x00001CD8
.long 0x804A4C4A
.long 0x824B804B
	;; [unrolled: 1-line block ×4, first 2 shown]
.long 0xD9BE0000, 0x00009822
.long 0xBF06810A
.long 0xBF850042
.long 0xE05C1000, 0x800E9C56
.long 0xE0901000, 0x800D7836
	;; [unrolled: 1-line block ×33, first 2 shown]
.long 0xBF8CC07F
.long 0xBF8A0000
.long 0xD9FE0000, 0x24000023
.long 0x7E40ACF9, 0x00040658
	;; [unrolled: 1-line block ×31, first 2 shown]
.long 0xBF06810A
.long 0xBF8505E2
.long 0xBF0B820A
.long 0xBF8502D2
.long 0xD9FE0040, 0x28000023
.long 0xBF8CC17F
.long 0xD3CD8000, 0x04020124
.long 0xBF06400A
.long 0x854A4643
	;; [unrolled: 1-line block ×8, first 2 shown]
.long 0xD3CD8004, 0x04120524
.long 0x853AC13E
.long 0xBF06400A
	;; [unrolled: 1-line block ×8, first 2 shown]
.long 0xD3CD8000, 0x04020926
.long 0xBF06803D
.long 0x8536C13C
	;; [unrolled: 1-line block ×3, first 2 shown]
.long 0xE05C1000, 0x800E9856
.long 0x7E40ACF9, 0x00040662
	;; [unrolled: 1-line block ×6, first 2 shown]
.long 0xBF8CCF76
.long 0xE0901000, 0x800D5836
.long 0x7E40ACF9, 0x00040663
	;; [unrolled: 1-line block ×4, first 2 shown]
.long 0xBF8CCF76
.long 0xE0901000, 0x800D5937
.long 0x7E40ACF9, 0x00040664
	;; [unrolled: 1-line block ×4, first 2 shown]
.long 0xBF8CC17F
.long 0xD3CD8000, 0x04021128
.long 0xBF8CCF76
.long 0xE0901000, 0x800D5A38
.long 0x7E40ACF9, 0x00040665
	;; [unrolled: 1-line block ×4, first 2 shown]
.long 0xBF8CCF76
.long 0xE0901000, 0x800D5B39
.long 0x7E40ACF9, 0x00040666
	;; [unrolled: 1-line block ×6, first 2 shown]
.long 0xBF8CCF76
.long 0xE0901000, 0x800D5C3A
.long 0x7E40ACF9, 0x00040667
	;; [unrolled: 1-line block ×4, first 2 shown]
.long 0xBF8CCF76
.long 0xE0901000, 0x800D5D3B
.long 0x7E40ACF9, 0x00040668
	;; [unrolled: 1-line block ×5, first 2 shown]
.long 0xBF8CCF76
.long 0xE0901000, 0x800D5E3C
.long 0x7E40ACF9, 0x00040669
	;; [unrolled: 1-line block ×4, first 2 shown]
.long 0xBF8CCF76
.long 0xE0901000, 0x800D5F3D
.long 0x7E40ACF9, 0x0004066A
.long 0x7E2214F9, 0x00061420
.long 0x7E2614F9, 0x00061421
.long 0xD3CD8004, 0x04121D2A
.long 0xBF8CCF76
.long 0xE0901000, 0x800D603E
.long 0x7E40ACF9, 0x0004066B
	;; [unrolled: 1-line block ×4, first 2 shown]
.long 0xBF8CCF76
.long 0xE0901000, 0x800D613F
.long 0x7E40ACF9, 0x0004066C
	;; [unrolled: 1-line block ×4, first 2 shown]
.long 0xBF8CC17F
.long 0xD3CD8000, 0x0402212C
.long 0xBF8CCF76
.long 0xE0901000, 0x800D6240
.long 0x7E40ACF9, 0x0004066D
	;; [unrolled: 1-line block ×4, first 2 shown]
.long 0xBF8CCF76
.long 0xE0901000, 0x800D6341
.long 0x7E40ACF9, 0x0004066E
	;; [unrolled: 1-line block ×5, first 2 shown]
.long 0xBF8CCF76
.long 0xE0901000, 0x800D6442
.long 0x7E40ACF9, 0x0004066F
	;; [unrolled: 1-line block ×4, first 2 shown]
.long 0xBF8CCF76
.long 0xE0901000, 0x800D6543
.long 0x7E40ACF9, 0x00040670
	;; [unrolled: 1-line block ×4, first 2 shown]
.long 0xBF8CC07F
.long 0xBF8A0000
.long 0xD3CD8000, 0x0402292E
.long 0xBF8CCF76
.long 0xE0901000, 0x800D6644
.long 0x7E40ACF9, 0x00040671
.long 0x7E3014F9, 0x00061520
.long 0x7E3414F9, 0x00061521
.long 0xBF8CCF76
.long 0xE0901000, 0x800D6745
.long 0x7E40ACF9, 0x00040672
.long 0x7E3214F9, 0x00061420
.long 0x7E3614F9, 0x00061421
.long 0xD3CD8004, 0x04122D2E
.long 0xBF8CCF76
.long 0xE0901000, 0x800D6846
.long 0x7E40ACF9, 0x00040673
.long 0x7E3214F9, 0x00061520
.long 0x7E3614F9, 0x00061521
.long 0xBF8CCF76
.long 0xE0901000, 0x800D6947
.long 0x7E40ACF9, 0x00040674
.long 0x7E3814F9, 0x00061420
.long 0x7E3C14F9, 0x00061421
	;; [unrolled: 11-line block ×3, first 2 shown]
.long 0xD3CD8004, 0x04123530
.long 0xBF8CCF76
.long 0xE0901000, 0x800D6C4A
.long 0x7E40ACF9, 0x00040677
.long 0x7E3A14F9, 0x00061520
.long 0x7E3E14F9, 0x00061521
.long 0xBF8CCF76
.long 0xE0901000, 0x800D6D4B
.long 0xD9BE0000, 0x00009C22
.long 0xBF8CCF76
.long 0xE0901000, 0x800D6E4C
.long 0x7E40ACF9, 0x00040678
	;; [unrolled: 1-line block ×4, first 2 shown]
.long 0xBF8CC07F
.long 0xBF8A0000
.long 0xD3CD8000, 0x04023932
.long 0xD9FE0000, 0x24000023
.long 0xBF8CCF76
.long 0xE0901000, 0x800D6F4D
.long 0x7E40ACF9, 0x00040679
	;; [unrolled: 1-line block ×5, first 2 shown]
.long 0xBF8CCF76
.long 0xE0901000, 0x800D704E
.long 0x7E40ACF9, 0x0004067A
.long 0x7E0214F9, 0x00061420
.long 0x7E0614F9, 0x00061421
.long 0xBF8CCF76
.long 0xE0901000, 0x800D714F
.long 0x7E40ACF9, 0x0004067B
.long 0x7E0214F9, 0x00061520
.long 0x7E0614F9, 0x00061521
	;; [unrolled: 5-line block ×8, first 2 shown]
.long 0x808A810A
.long 0xBF00820A
	;; [unrolled: 1-line block ×3, first 2 shown]
.long 0xD9FE0040, 0x28000023
.long 0xBF8CC17F
.long 0xD3CD8000, 0x04020124
.long 0xBF06400A
.long 0x854A4643
	;; [unrolled: 1-line block ×8, first 2 shown]
.long 0xD3CD8004, 0x04120524
.long 0x853AC13E
.long 0xBF06400A
	;; [unrolled: 1-line block ×8, first 2 shown]
.long 0xD3CD8000, 0x04020926
.long 0xBF06803D
.long 0x8536C13C
.long 0xBF8CCF76
.long 0xE05C1000, 0x800E9C56
.long 0x7E40ACF9, 0x00040682
.long 0x7E1214F9, 0x00061420
.long 0x7E1614F9, 0x00061421
.long 0xD9FE0080, 0x2C000023
.long 0xD3CD8004, 0x04120D26
.long 0xBF8CCF76
.long 0xE0901000, 0x800D7836
.long 0x7E40ACF9, 0x00040683
	;; [unrolled: 1-line block ×4, first 2 shown]
.long 0xBF8CCF76
.long 0xE0901000, 0x800D7937
.long 0x7E40ACF9, 0x00040684
	;; [unrolled: 1-line block ×4, first 2 shown]
.long 0xBF8CC17F
.long 0xD3CD8000, 0x04021128
.long 0xBF8CCF76
.long 0xE0901000, 0x800D7A38
.long 0x7E40ACF9, 0x00040685
	;; [unrolled: 1-line block ×4, first 2 shown]
.long 0xBF8CCF76
.long 0xE0901000, 0x800D7B39
.long 0x7E40ACF9, 0x00040686
	;; [unrolled: 1-line block ×6, first 2 shown]
.long 0xBF8CCF76
.long 0xE0901000, 0x800D7C3A
.long 0x7E40ACF9, 0x00040687
	;; [unrolled: 1-line block ×4, first 2 shown]
.long 0xBF8CCF76
.long 0xE0901000, 0x800D7D3B
.long 0x7E40ACF9, 0x00040688
	;; [unrolled: 1-line block ×5, first 2 shown]
.long 0xBF8CCF76
.long 0xE0901000, 0x800D7E3C
.long 0x7E40ACF9, 0x00040689
	;; [unrolled: 1-line block ×4, first 2 shown]
.long 0xBF8CCF76
.long 0xE0901000, 0x800D7F3D
.long 0x7E40ACF9, 0x0004068A
.long 0x7E2214F9, 0x00061420
.long 0x7E2614F9, 0x00061421
.long 0xD3CD8004, 0x04121D2A
.long 0xBF8CCF76
.long 0xE0901000, 0x800D803E
.long 0x7E40ACF9, 0x0004068B
	;; [unrolled: 1-line block ×4, first 2 shown]
.long 0xBF8CCF76
.long 0xE0901000, 0x800D813F
.long 0x7E40ACF9, 0x0004068C
	;; [unrolled: 1-line block ×4, first 2 shown]
.long 0xBF8CC17F
.long 0xD3CD8000, 0x0402212C
.long 0xBF8CCF76
.long 0xE0901000, 0x800D8240
.long 0x7E40ACF9, 0x0004068D
	;; [unrolled: 1-line block ×4, first 2 shown]
.long 0xBF8CCF76
.long 0xE0901000, 0x800D8341
.long 0x7E40ACF9, 0x0004068E
	;; [unrolled: 1-line block ×5, first 2 shown]
.long 0xBF8CCF76
.long 0xE0901000, 0x800D8442
.long 0x7E40ACF9, 0x0004068F
	;; [unrolled: 1-line block ×4, first 2 shown]
.long 0xBF8CCF76
.long 0xE0901000, 0x800D8543
.long 0x7E40ACF9, 0x00040690
	;; [unrolled: 1-line block ×4, first 2 shown]
.long 0xBF8CC07F
.long 0xBF8A0000
.long 0xD3CD8000, 0x0402292E
.long 0xBF8CCF76
.long 0xE0901000, 0x800D8644
.long 0x7E40ACF9, 0x00040691
.long 0x7E3014F9, 0x00061520
.long 0x7E3414F9, 0x00061521
.long 0xBF8CCF76
.long 0xE0901000, 0x800D8745
.long 0x7E40ACF9, 0x00040692
.long 0x7E3214F9, 0x00061420
.long 0x7E3614F9, 0x00061421
.long 0xD3CD8004, 0x04122D2E
.long 0xBF8CCF76
.long 0xE0901000, 0x800D8846
.long 0x7E40ACF9, 0x00040693
.long 0x7E3214F9, 0x00061520
.long 0x7E3614F9, 0x00061521
.long 0xBF8CCF76
.long 0xE0901000, 0x800D8947
.long 0x7E40ACF9, 0x00040694
.long 0x7E3814F9, 0x00061420
.long 0x7E3C14F9, 0x00061421
	;; [unrolled: 11-line block ×3, first 2 shown]
.long 0xD3CD8004, 0x04123530
.long 0xBF8CCF76
.long 0xE0901000, 0x800D8C4A
.long 0x7E40ACF9, 0x00040697
	;; [unrolled: 1-line block ×4, first 2 shown]
.long 0xBF8CCF76
.long 0xE0901000, 0x800D8D4B
.long 0xD9BE0000, 0x00009822
.long 0xBF8CCF76
.long 0xE0901000, 0x800D8E4C
.long 0x7E40ACF9, 0x00040658
	;; [unrolled: 1-line block ×4, first 2 shown]
.long 0xBF8CC07F
.long 0xBF8A0000
.long 0xD3CD8000, 0x04023932
.long 0xD9FE0000, 0x24000023
.long 0xBF8CCF77
.long 0xE0901000, 0x800D8F4D
.long 0x7E40ACF9, 0x00040659
	;; [unrolled: 1-line block ×5, first 2 shown]
.long 0xBF8CCF76
.long 0xE0901000, 0x800D904E
.long 0x7E40ACF9, 0x0004065A
.long 0x7E0214F9, 0x00061420
.long 0x7E0614F9, 0x00061421
.long 0xBF8CCF76
.long 0xE0901000, 0x800D914F
.long 0x7E40ACF9, 0x0004065B
.long 0x7E0214F9, 0x00061520
.long 0x7E0614F9, 0x00061521
	;; [unrolled: 5-line block ×8, first 2 shown]
.long 0x808A810A
.long 0xBF00820A
	;; [unrolled: 1-line block ×3, first 2 shown]
.long 0xD9FE0040, 0x28000023
.long 0xBF8CC17F
.long 0xD3CD8000, 0x04020124
.long 0xBF06400A
.long 0x854A4643
	;; [unrolled: 1-line block ×8, first 2 shown]
.long 0xD3CD8004, 0x04120524
.long 0x853AC13E
.long 0xBF06400A
	;; [unrolled: 1-line block ×7, first 2 shown]
.long 0x7E40ACF9, 0x00040662
.long 0x7E1214F9, 0x00061420
	;; [unrolled: 1-line block ×5, first 2 shown]
.long 0x80BC4A3C
.long 0x82BD4B3D
	;; [unrolled: 1-line block ×5, first 2 shown]
.long 0x7E40ACF9, 0x00040663
.long 0x7E1214F9, 0x00061520
.long 0x7E1614F9, 0x00061521
.long 0xD3CD8004, 0x04120D26
.long 0xBF8CCF74
.long 0x7E40ACF9, 0x00040664
.long 0x7E1814F9, 0x00061420
	;; [unrolled: 1-line block ×3, first 2 shown]
.long 0xBF8CCF73
.long 0x7E40ACF9, 0x00040665
.long 0x7E1814F9, 0x00061520
	;; [unrolled: 1-line block ×3, first 2 shown]
.long 0xBF8CC17F
.long 0xD3CD8000, 0x04021128
.long 0xD9FE00C0, 0x30000023
.long 0xBF8CCF72
.long 0x7E40ACF9, 0x00040666
.long 0x7E1A14F9, 0x00061420
.long 0x7E1E14F9, 0x00061421
.long 0xBF8CCF71
.long 0x7E40ACF9, 0x00040667
.long 0x7E1A14F9, 0x00061520
.long 0x7E1E14F9, 0x00061521
.long 0xD3CD8004, 0x04121528
.long 0xBF8CCF70
.long 0x7E40ACF9, 0x00040668
.long 0x7E2014F9, 0x00061420
.long 0x7E2414F9, 0x00061421
.long 0xBF8C8F7F
.long 0x7E40ACF9, 0x00040669
.long 0x7E2014F9, 0x00061520
	;; [unrolled: 9-line block ×4, first 2 shown]
.long 0x7E2C14F9, 0x00061521
.long 0xBF8CC17F
.long 0xD3CD8000, 0x0402212C
.long 0xBF8C8F7A
.long 0x7E40ACF9, 0x0004066E
.long 0x7E2A14F9, 0x00061420
	;; [unrolled: 1-line block ×3, first 2 shown]
.long 0xBF8C8F79
.long 0x7E40ACF9, 0x0004066F
.long 0x7E2A14F9, 0x00061520
	;; [unrolled: 1-line block ×4, first 2 shown]
.long 0xBF8C8F78
.long 0x7E40ACF9, 0x00040670
.long 0x7E3014F9, 0x00061420
	;; [unrolled: 1-line block ×3, first 2 shown]
.long 0xBF8C8F77
.long 0x7E40ACF9, 0x00040671
.long 0x7E3014F9, 0x00061520
.long 0x7E3414F9, 0x00061521
.long 0xBF8CC07F
.long 0xBF8A0000
.long 0xD3CD8000, 0x0402292E
.long 0xBF8C8F76
.long 0x7E40ACF9, 0x00040672
.long 0x7E3214F9, 0x00061420
.long 0x7E3614F9, 0x00061421
.long 0xBF8C8F75
.long 0x7E40ACF9, 0x00040673
.long 0x7E3214F9, 0x00061520
.long 0x7E3614F9, 0x00061521
.long 0xD3CD8004, 0x04122D2E
.long 0xBF8C8F74
.long 0x7E40ACF9, 0x00040674
.long 0x7E3814F9, 0x00061420
.long 0x7E3C14F9, 0x00061421
.long 0xBF8C8F73
.long 0x7E40ACF9, 0x00040675
.long 0x7E3814F9, 0x00061520
.long 0x7E3C14F9, 0x00061521
	;; [unrolled: 9-line block ×3, first 2 shown]
.long 0xD3CD8004, 0x04123530
.long 0xBF8C8F70
.long 0xD9BE0000, 0x00009C22
.long 0xBF8C4F7F
.long 0x7E40ACF9, 0x00040678
.long 0x7E0014F9, 0x00061420
	;; [unrolled: 1-line block ×4, first 2 shown]
.long 0xBF8CC07F
.long 0xBF8A0000
.long 0xD9FE0000, 0x24000023
.long 0xD3CD8004, 0x04123D32
.long 0xBF8C4F7E
.long 0x7E40ACF9, 0x00040679
.long 0x7E0014F9, 0x00061520
.long 0x7E0414F9, 0x00061521
.long 0xBF8C4F7D
.long 0x7E40ACF9, 0x0004067A
	;; [unrolled: 4-line block ×9, first 2 shown]
.long 0x7E1014F9, 0x00061520
.long 0x7E1414F9, 0x00061521
	;; [unrolled: 1-line block ×3, first 2 shown]
.long 0xBF8C4F75
.long 0x7E40ACF9, 0x00040682
.long 0x7E1214F9, 0x00061420
	;; [unrolled: 1-line block ×3, first 2 shown]
.long 0xBF8CC17F
.long 0xD3CD8000, 0x04020124
.long 0xBF8C4F74
.long 0x7E40ACF9, 0x00040683
.long 0x7E1214F9, 0x00061520
	;; [unrolled: 1-line block ×3, first 2 shown]
.long 0xBF8C4F73
.long 0x7E40ACF9, 0x00040684
.long 0x7E1814F9, 0x00061420
	;; [unrolled: 1-line block ×4, first 2 shown]
.long 0xBF8C4F72
.long 0x7E40ACF9, 0x00040685
.long 0x7E1814F9, 0x00061520
	;; [unrolled: 1-line block ×3, first 2 shown]
.long 0xBF8C4F71
.long 0x7E40ACF9, 0x00040686
.long 0x7E1A14F9, 0x00061420
	;; [unrolled: 1-line block ×5, first 2 shown]
.long 0xBF8C4F70
.long 0x7E40ACF9, 0x00040687
.long 0x7E1A14F9, 0x00061520
.long 0x7E1E14F9, 0x00061521
.long 0xD3CD8004, 0x04120D26
.long 0xBF8C0F7F
.long 0x7E40ACF9, 0x00040688
.long 0x7E2014F9, 0x00061420
	;; [unrolled: 1-line block ×3, first 2 shown]
.long 0xBF8CC17F
.long 0xD3CD8000, 0x04021128
.long 0xD9FE00C0, 0x30000023
.long 0xBF8C0F7E
.long 0x7E40ACF9, 0x00040689
.long 0x7E2014F9, 0x00061520
.long 0x7E2414F9, 0x00061521
.long 0xD3CD8004, 0x04121528
.long 0xBF8C0F7D
.long 0x7E40ACF9, 0x0004068A
.long 0x7E2214F9, 0x00061420
.long 0x7E2614F9, 0x00061421
.long 0xBF8C0F7C
.long 0x7E40ACF9, 0x0004068B
.long 0x7E2214F9, 0x00061520
.long 0x7E2614F9, 0x00061521
.long 0xD3CD8000, 0x0402192A
.long 0xBF8C0F7B
.long 0x7E40ACF9, 0x0004068C
	;; [unrolled: 9-line block ×3, first 2 shown]
.long 0x7E2A14F9, 0x00061420
.long 0x7E2E14F9, 0x00061421
.long 0xBF8C0F78
.long 0x7E40ACF9, 0x0004068F
.long 0x7E2A14F9, 0x00061520
	;; [unrolled: 1-line block ×3, first 2 shown]
.long 0xBF8CC17F
.long 0xD3CD8000, 0x0402212C
.long 0xBF8C0F77
.long 0x7E40ACF9, 0x00040690
.long 0x7E3014F9, 0x00061420
	;; [unrolled: 1-line block ×3, first 2 shown]
.long 0xBF8C0F76
.long 0x7E40ACF9, 0x00040691
.long 0x7E3014F9, 0x00061520
	;; [unrolled: 1-line block ×4, first 2 shown]
.long 0xBF8C0F75
.long 0x7E40ACF9, 0x00040692
.long 0x7E3214F9, 0x00061420
	;; [unrolled: 1-line block ×3, first 2 shown]
.long 0xBF8C0F74
.long 0x7E40ACF9, 0x00040693
.long 0x7E3214F9, 0x00061520
	;; [unrolled: 1-line block ×3, first 2 shown]
.long 0xBF8CC07F
.long 0xBF8A0000
.long 0xD3CD8000, 0x0402292E
.long 0xBF8C0F73
.long 0x7E40ACF9, 0x00040694
.long 0x7E3814F9, 0x00061420
.long 0x7E3C14F9, 0x00061421
.long 0xBF8C0F72
.long 0x7E40ACF9, 0x00040695
.long 0x7E3814F9, 0x00061520
.long 0x7E3C14F9, 0x00061521
.long 0xD3CD8004, 0x04122D2E
.long 0xBF8C0F71
.long 0x7E40ACF9, 0x00040696
.long 0x7E3A14F9, 0x00061420
.long 0x7E3E14F9, 0x00061421
.long 0xD3CD8000, 0x04023130
.long 0xBF8C0F70
.long 0x7E40ACF9, 0x00040697
.long 0x7E3A14F9, 0x00061520
.long 0x7E3E14F9, 0x00061521
	;; [unrolled: 1-line block ×5, first 2 shown]
.long 0xBF8201EB
.long 0xD9FE0040, 0x28000023
.long 0xBF8CC17F
.long 0xD3CD8000, 0x04020124
.long 0xBF06400A
.long 0x854A4643
	;; [unrolled: 1-line block ×8, first 2 shown]
.long 0xD3CD8004, 0x04120524
.long 0x853AC13E
.long 0xBF06400A
	;; [unrolled: 1-line block ×7, first 2 shown]
.long 0x7E40ACF9, 0x00040682
.long 0x7E1214F9, 0x00061420
	;; [unrolled: 1-line block ×5, first 2 shown]
.long 0x80BC4A3C
.long 0x82BD4B3D
	;; [unrolled: 1-line block ×5, first 2 shown]
.long 0x7E40ACF9, 0x00040683
.long 0x7E1214F9, 0x00061520
.long 0x7E1614F9, 0x00061521
.long 0xD3CD8004, 0x04120D26
.long 0xBF8CCF74
.long 0x7E40ACF9, 0x00040684
.long 0x7E1814F9, 0x00061420
	;; [unrolled: 1-line block ×3, first 2 shown]
.long 0xBF8CCF73
.long 0x7E40ACF9, 0x00040685
.long 0x7E1814F9, 0x00061520
	;; [unrolled: 1-line block ×3, first 2 shown]
.long 0xBF8CC17F
.long 0xD3CD8000, 0x04021128
.long 0xD9FE00C0, 0x30000023
.long 0xBF8CCF72
.long 0x7E40ACF9, 0x00040686
.long 0x7E1A14F9, 0x00061420
.long 0x7E1E14F9, 0x00061421
.long 0xBF8CCF71
.long 0x7E40ACF9, 0x00040687
.long 0x7E1A14F9, 0x00061520
.long 0x7E1E14F9, 0x00061521
.long 0xD3CD8004, 0x04121528
.long 0xBF8CCF70
.long 0x7E40ACF9, 0x00040688
.long 0x7E2014F9, 0x00061420
.long 0x7E2414F9, 0x00061421
.long 0xBF8C8F7F
.long 0x7E40ACF9, 0x00040689
.long 0x7E2014F9, 0x00061520
	;; [unrolled: 9-line block ×4, first 2 shown]
.long 0x7E2C14F9, 0x00061521
.long 0xBF8CC17F
.long 0xD3CD8000, 0x0402212C
.long 0xBF8C8F7A
.long 0x7E40ACF9, 0x0004068E
.long 0x7E2A14F9, 0x00061420
	;; [unrolled: 1-line block ×3, first 2 shown]
.long 0xBF8C8F79
.long 0x7E40ACF9, 0x0004068F
.long 0x7E2A14F9, 0x00061520
.long 0x7E2E14F9, 0x00061521
.long 0xD3CD8004, 0x0412252C
.long 0xBF8C8F78
.long 0x7E40ACF9, 0x00040690
.long 0x7E3014F9, 0x00061420
	;; [unrolled: 1-line block ×3, first 2 shown]
.long 0xBF8C8F77
.long 0x7E40ACF9, 0x00040691
.long 0x7E3014F9, 0x00061520
	;; [unrolled: 1-line block ×3, first 2 shown]
.long 0xBF8CC07F
.long 0xBF8A0000
.long 0xD3CD8000, 0x0402292E
.long 0xBF8C8F76
.long 0x7E40ACF9, 0x00040692
.long 0x7E3214F9, 0x00061420
.long 0x7E3614F9, 0x00061421
.long 0xBF8C8F75
.long 0x7E40ACF9, 0x00040693
.long 0x7E3214F9, 0x00061520
.long 0x7E3614F9, 0x00061521
.long 0xD3CD8004, 0x04122D2E
.long 0xBF8C8F74
.long 0x7E40ACF9, 0x00040694
.long 0x7E3814F9, 0x00061420
.long 0x7E3C14F9, 0x00061421
.long 0xBF8C8F73
.long 0x7E40ACF9, 0x00040695
.long 0x7E3814F9, 0x00061520
.long 0x7E3C14F9, 0x00061521
	;; [unrolled: 9-line block ×3, first 2 shown]
.long 0xD3CD8004, 0x04123530
.long 0xBF8C8F70
.long 0xD9BE0000, 0x00009822
.long 0xBF8C4F7F
.long 0x7E40ACF9, 0x00040658
.long 0x7E0014F9, 0x00061420
	;; [unrolled: 1-line block ×4, first 2 shown]
.long 0xBF8CC07F
.long 0xBF8A0000
.long 0xD9FE0000, 0x24000023
.long 0xD3CD8004, 0x04123D32
.long 0xBF8C4F7E
.long 0x7E40ACF9, 0x00040659
.long 0x7E0014F9, 0x00061520
.long 0x7E0414F9, 0x00061521
.long 0xBF8C4F7D
.long 0x7E40ACF9, 0x0004065A
	;; [unrolled: 4-line block ×9, first 2 shown]
.long 0x7E1014F9, 0x00061520
.long 0x7E1414F9, 0x00061521
.long 0xBF068132
.long 0xBF840000
.long 0xD9FE0040, 0x28000023
.long 0xBF8C4F75
.long 0x7E40ACF9, 0x00040662
.long 0x7E1214F9, 0x00061420
	;; [unrolled: 1-line block ×3, first 2 shown]
.long 0xBF8CC17F
.long 0xD3CD8000, 0x04020124
.long 0xBF8C4F74
.long 0x7E40ACF9, 0x00040663
.long 0x7E1214F9, 0x00061520
	;; [unrolled: 1-line block ×3, first 2 shown]
.long 0xBF8C4F73
.long 0x7E40ACF9, 0x00040664
.long 0x7E1814F9, 0x00061420
	;; [unrolled: 1-line block ×4, first 2 shown]
.long 0xBF8C4F72
.long 0x7E40ACF9, 0x00040665
.long 0x7E1814F9, 0x00061520
	;; [unrolled: 1-line block ×3, first 2 shown]
.long 0xBF8C4F71
.long 0x7E40ACF9, 0x00040666
.long 0x7E1A14F9, 0x00061420
	;; [unrolled: 1-line block ×5, first 2 shown]
.long 0xBF8C4F70
.long 0x7E40ACF9, 0x00040667
.long 0x7E1A14F9, 0x00061520
	;; [unrolled: 1-line block ×4, first 2 shown]
.long 0xBF8C0F7F
.long 0x7E40ACF9, 0x00040668
.long 0x7E2014F9, 0x00061420
	;; [unrolled: 1-line block ×3, first 2 shown]
.long 0xBF8CC17F
.long 0xD3CD8000, 0x04021128
.long 0xD9FE00C0, 0x30000023
.long 0xBF8C0F7E
.long 0x7E40ACF9, 0x00040669
.long 0x7E2014F9, 0x00061520
.long 0x7E2414F9, 0x00061521
.long 0xD3CD8004, 0x04121528
.long 0xBF8C0F7D
.long 0x7E40ACF9, 0x0004066A
.long 0x7E2214F9, 0x00061420
.long 0x7E2614F9, 0x00061421
.long 0xBF8C0F7C
.long 0x7E40ACF9, 0x0004066B
.long 0x7E2214F9, 0x00061520
.long 0x7E2614F9, 0x00061521
.long 0xD3CD8000, 0x0402192A
.long 0xBF8C0F7B
.long 0x7E40ACF9, 0x0004066C
	;; [unrolled: 9-line block ×3, first 2 shown]
.long 0x7E2A14F9, 0x00061420
.long 0x7E2E14F9, 0x00061421
.long 0xBF8C0F78
.long 0x7E40ACF9, 0x0004066F
.long 0x7E2A14F9, 0x00061520
	;; [unrolled: 1-line block ×3, first 2 shown]
.long 0xBF8CC17F
.long 0xD3CD8000, 0x0402212C
.long 0xBF8C0F77
.long 0x7E40ACF9, 0x00040670
.long 0x7E3014F9, 0x00061420
.long 0x7E3414F9, 0x00061421
.long 0xBF8C0F76
.long 0x7E40ACF9, 0x00040671
.long 0x7E3014F9, 0x00061520
	;; [unrolled: 1-line block ×4, first 2 shown]
.long 0xBF8C0F75
.long 0x7E40ACF9, 0x00040672
.long 0x7E3214F9, 0x00061420
	;; [unrolled: 1-line block ×3, first 2 shown]
.long 0xBF8C0F74
.long 0x7E40ACF9, 0x00040673
.long 0x7E3214F9, 0x00061520
	;; [unrolled: 1-line block ×3, first 2 shown]
.long 0xBF8CC07F
.long 0xBF8A0000
.long 0xD3CD8000, 0x0402292E
.long 0xBF8C0F73
.long 0x7E40ACF9, 0x00040674
.long 0x7E3814F9, 0x00061420
.long 0x7E3C14F9, 0x00061421
.long 0xBF8C0F72
.long 0x7E40ACF9, 0x00040675
.long 0x7E3814F9, 0x00061520
.long 0x7E3C14F9, 0x00061521
.long 0xD3CD8004, 0x04122D2E
.long 0xBF8C0F71
.long 0x7E40ACF9, 0x00040676
.long 0x7E3A14F9, 0x00061420
.long 0x7E3E14F9, 0x00061421
.long 0xD3CD8000, 0x04023130
.long 0xBF8C0F70
.long 0x7E40ACF9, 0x00040677
.long 0x7E3A14F9, 0x00061520
.long 0x7E3E14F9, 0x00061521
	;; [unrolled: 1-line block ×6, first 2 shown]
.long 0xBF070706
.long 0xBE8A0280
	;; [unrolled: 1-line block ×31, first 2 shown]
.long 0xD2850001, 0x00020284
.long 0xD2850001, 0x0002022C
.long 0x68000101
.long 0x20026886
	;; [unrolled: 1-line block ×10, first 2 shown]
.long 0xD1120001, 0x00005884
.long 0x68746D01
.long 0x68767500
	;; [unrolled: 1-line block ×4, first 2 shown]
.long 0xD1120001, 0x00005885
.long 0x687C6D01
.long 0x687E7D00
.long 0x68807F00
.long 0x68828100
.long 0x7E0402B0
.long 0xD2850001, 0x0002042C
.long 0x68846D01
.long 0x68868500
	;; [unrolled: 1-line block ×4, first 2 shown]
.long 0xD1120001, 0x00005886
.long 0x688C6D01
.long 0x688E8D00
.long 0x68908F00
.long 0x68929100
.long 0x7E0402FF, 0x00000050
.long 0xD2850001, 0x0002042C
.long 0x68946D01
.long 0x68969500
.long 0x68989700
.long 0x689A9900
.long 0x7E0402FF, 0x00000060
	;; [unrolled: 6-line block ×4, first 2 shown]
.long 0xE0901000, 0x800D5937
.long 0xE0901000, 0x800D5A38
	;; [unrolled: 1-line block ×35, first 2 shown]
.long 0xBF8C0F70
.long 0xBF8A0000
.long 0xD9BE0000, 0x00009822
.long 0x260268BF
.long 0x2600028F
.long 0x20020284
.long 0x26020280
.long 0x24020284
.long 0x68000101
.long 0x24000081
.long 0x260268BF
.long 0x20020284
.long 0x24020289
.long 0x68000101
.long 0x20026886
.long 0x26020283
.long 0x24020285
.long 0x68000101
.long 0x260468BF
.long 0x2602048F
.long 0x24020287
.long 0x20040484
.long 0x26040480
.long 0x2404048B
.long 0x68020302
.long 0x260468BF
.long 0x20040484
.long 0x24040482
.long 0x68020302
.long 0x20046888
.long 0xBE8500FF, 0x00000080
.long 0xD2850002, 0x00020405
.long 0x20006888
.long 0xBE850090
.long 0xD2850000, 0x00020005
.long 0xD1FE0023, 0x02060300
.long 0x20044688
.long 0x24040485
.long 0x68464702
.long 0xBF8CC07F
.long 0xBF8A0000
.long 0xD8EC0000, 0x24000023
.long 0xBE8500A0
.long 0x32464605
.long 0x7E40ACF9, 0x00040658
.long 0x7E0014F9, 0x00061420
	;; [unrolled: 1-line block ×12, first 2 shown]
.long 0xBF8CC07F
.long 0x266668BF
	;; [unrolled: 1-line block ×4, first 2 shown]
.long 0xD0C6004A, 0x00001533
.long 0xD1000024, 0x01290124
	;; [unrolled: 1-line block ×8, first 2 shown]
.long 0x7EB0035C
.long 0x7EB2035D
	;; [unrolled: 1-line block ×4, first 2 shown]
.long 0xD3CD8004, 0x04120524
.long 0x7EB80360
.long 0x7EBA0361
	;; [unrolled: 1-line block ×29, first 2 shown]
.long 0xC00E0D00, 0x0000005C
.long 0xC00A0F00, 0x0000007C
	;; [unrolled: 1-line block ×4, first 2 shown]
.long 0x20086886
.long 0x200A0882
.long 0xD2850005, 0x00020A90
.long 0x260268BF
.long 0x20020284
	;; [unrolled: 1-line block ×3, first 2 shown]
.long 0xD1FE0001, 0x02020305
.long 0xD2850002, 0x00005501
	;; [unrolled: 1-line block ×3, first 2 shown]
.long 0x26000883
.long 0xD2850000, 0x00020090
.long 0x260A688F
.long 0xD1FE0000, 0x02060105
.long 0x923302FF, 0x00000080
.long 0x68000033
.long 0x92330390
	;; [unrolled: 1-line block ×7, first 2 shown]
.long 0x815684FF, 0x00066BD4
.long 0x80545654
.long 0x82558055
	;; [unrolled: 1-line block ×6, first 2 shown]
.long 0xC0020CDA, 0x00000000
.long 0xBEC100F2
.long 0xBF128036
	;; [unrolled: 1-line block ×3, first 2 shown]
.long 0xC002105B, 0x00000000
.long 0xBEC80038
.long 0xBEC90039
.long 0xBECB00FF, 0x00020000
.long 0xBF128038
.long 0xBF840002
	;; [unrolled: 1-line block ×6, first 2 shown]
.long 0xBED300FF, 0x00020000
.long 0xBED200FF, 0x80000000
.long 0x92420390
.long 0x96552A42
.long 0x92542A42
.long 0x8ED48154
.long 0x80505444
.long 0x82515545
.long 0x9655042B
.long 0x9254042B
.long 0x8ED48154
.long 0x80505450
.long 0x82515551
.long 0x80428104
.long 0x9242423D
.long 0xBF068042
.long 0x8542421C
.long 0xBECC003A
.long 0xBECD003B
.long 0xBECF00FF, 0x00020000
.long 0xBF12803A
.long 0xBF840002
	;; [unrolled: 1-line block ×8, first 2 shown]
.long 0x924202FF, 0x00000080
.long 0x68106842
.long 0x9242043D
	;; [unrolled: 1-line block ×4, first 2 shown]
.long 0xE0501000, 0x80130408
.long 0x24106882
.long 0xBF8C0F70
.long 0xBF8A0000
.long 0xD81A0000, 0x00000408
.long 0xBF820012
.long 0xB4BC0004
.long 0xBF850010
.long 0x924E4E82
.long 0x924202FF, 0x00000080
.long 0x68106842
	;; [unrolled: 5-line block ×4, first 2 shown]
.long 0x7E080230
.long 0xBF8CC07F
.long 0xD1050004, 0x00006704
.long 0xD1050004, 0x00008304
.long 0xBF800000
.long 0x7E600504
	;; [unrolled: 1-line block ×5, first 2 shown]
.long 0x815684FF, 0x00032FE4
.long 0x80545654
.long 0x82558055
	;; [unrolled: 1-line block ×3, first 2 shown]
.long 0x86541CFF, 0x0000007F
.long 0x805514C1
.long 0xBF095502
.long 0x85548054
.long 0xB5540000
.long 0xBF840006
.long 0xBED41C00
.long 0x815684FF, 0x0001939C
.long 0x80545654
.long 0x82558055
	;; [unrolled: 1-line block ×10, first 2 shown]
.long 0x815684FF, 0x0001936C
.long 0x80545654
.long 0x82558055
.long 0xBE801D54
.long 0xB4400000
.long 0xBF850016
.long 0xB4400001
.long 0xBF850B11
.long 0xB4400002
.long 0xBF85161C
.long 0xB4400003
.long 0xBF852132
.long 0xB4400004
.long 0xBF852CA8
.long 0xB4400005
.long 0xBF8537BE
.long 0xB4400006
.long 0xBF8542C4
.long 0xB4400007
.long 0xBF854DF2
.long 0xB4400009
.long 0xBF840006
.long 0xBED41C00
.long 0x815684FF, 0x000164F8
.long 0x80545654
.long 0x82558055
	;; [unrolled: 1-line block ×3, first 2 shown]
.long 0x924202FF, 0x00000080
.long 0xD1350009, 0x00008500
.long 0x24121282
.long 0xBF8CC07F
	;; [unrolled: 1-line block ×3, first 2 shown]
.long 0xD8EC0000, 0x0C000009
.long 0x24140082
.long 0xE0541000, 0x80120E0A
.long 0xD1FE0006, 0x020A0103
	;; [unrolled: 1-line block ×11, first 2 shown]
.long 0xBF800001
.long 0xE074D000, 0x80031006
.long 0x8E428228
.long 0x800C420C
.long 0x820D800D
.long 0xE074D000, 0x80031206
.long 0x8E428228
.long 0x800C420C
	;; [unrolled: 4-line block ×4, first 2 shown]
.long 0x92330454
.long 0x92411403
	;; [unrolled: 1-line block ×14, first 2 shown]
.long 0xC2330CCC, 0x00000000
.long 0x965B811C
.long 0x925A811C
	;; [unrolled: 1-line block ×15, first 2 shown]
.long 0x7E1602FF, 0x80000000
.long 0xBEDC0016
.long 0xBEDD0017
.long 0xBEDE000E
.long 0xBEDF000F
.long 0xBF8CC07F
.long 0xBF068133
.long 0xBF840A9A
.long 0xE054D000, 0x80171006
.long 0xBE850032
.long 0x81858105
	;; [unrolled: 1-line block ×6, first 2 shown]
.long 0xE054D000, 0x80178006
.long 0x81858105
.long 0x805C565C
.long 0x825D575D
.long 0xBF008005
.long 0xBF850276
.long 0xE054D000, 0x80178806
.long 0x81858105
.long 0x805C565C
.long 0x825D575D
.long 0xBF008005
.long 0xBF850268
.long 0xE054D000, 0x80179006
.long 0x81858105
.long 0x805C565C
.long 0x825D575D
.long 0xBF008005
.long 0xBF850257
.long 0xE054D000, 0x80179806
.long 0x81858105
.long 0x805C565C
.long 0x825D575D
.long 0xBF008005
.long 0xBF850243
.long 0xE054D000, 0x8017A006
.long 0x81858105
.long 0x805C565C
.long 0x825D575D
.long 0xBF008005
.long 0xBF85022C
.long 0xE054D000, 0x8017A806
.long 0x81858105
.long 0x805C565C
.long 0x825D575D
.long 0xBF008005
.long 0xBF850212
.long 0xE054D000, 0x8017B006
.long 0x81858105
.long 0x805C565C
.long 0x825D575D
.long 0xBF008005
.long 0xBF8501F5
.long 0xE054D000, 0x8017B806
.long 0x81858105
.long 0x805C565C
.long 0x825D575D
.long 0xBF008005
.long 0xBF8501D5
.long 0xE054D000, 0x8017C006
.long 0x81858105
.long 0x805C565C
.long 0x825D575D
.long 0xBF008005
.long 0xBF8501B2
.long 0xE054D000, 0x8017C806
.long 0x81858105
.long 0x805C565C
.long 0x825D575D
.long 0xBF008005
.long 0xBF85018C
.long 0xE054D000, 0x8017D006
.long 0x81858105
.long 0x805C565C
.long 0x825D575D
.long 0xBF008005
.long 0xBF850163
.long 0xE054D000, 0x8017D806
.long 0x81858105
.long 0x805C565C
.long 0x825D575D
.long 0xBF008005
.long 0xBF850137
.long 0xE054D000, 0x8017E006
.long 0x81858105
.long 0x805C565C
.long 0x825D575D
.long 0xBF008005
.long 0xBF850108
.long 0xE054D000, 0x8017E806
.long 0x81858105
.long 0x805C565C
.long 0x825D575D
.long 0xBF008005
.long 0xBF8500D6
.long 0xE054D000, 0x8017F006
.long 0xBF8C0F7E
.long 0xD3B24010, 0x18030110
.long 0x81858105
.long 0xBF05CE05
.long 0xBF850217
.long 0x805C565C
.long 0x825D575D
.long 0xD0C60058, 0x00000A80
.long 0xD1000018, 0x01621706
.long 0xE054D000, 0x80178018
.long 0xBF8C0F7E
.long 0xD3B24010, 0x18031110
.long 0x81858105
.long 0xBF05CE05
.long 0xBF850209
.long 0x805C565C
.long 0x825D575D
.long 0xD0C60058, 0x00000A80
.long 0xD1000018, 0x01621706
	;; [unrolled: 10-line block ×15, first 2 shown]
.long 0xE054D000, 0x8017F018
.long 0xBF02CE05
.long 0xBF85FF2C
	;; [unrolled: 1-line block ×3, first 2 shown]
.long 0xD3B24010, 0x18030110
.long 0xBF8C0F7C
.long 0xD3B24010, 0x18031110
.long 0xBF8C0F7B
	;; [unrolled: 2-line block ×14, first 2 shown]
.long 0xBF8C0F7C
.long 0xD3B24010, 0x18030110
.long 0xBF8C0F7B
.long 0xD3B24010, 0x18031110
	;; [unrolled: 2-line block ×13, first 2 shown]
.long 0xBF8200F6
.long 0xBF8C0F7B
.long 0xD3B24010, 0x18030110
.long 0xBF8C0F7A
.long 0xD3B24010, 0x18031110
	;; [unrolled: 2-line block ×12, first 2 shown]
.long 0xBF8200D1
.long 0xBF8C0F7A
.long 0xD3B24010, 0x18030110
.long 0xBF8C0F79
.long 0xD3B24010, 0x18031110
.long 0xBF8C0F78
.long 0xD3B24010, 0x18032110
.long 0xBF8C0F77
.long 0xD3B24010, 0x18033110
.long 0xBF8C0F76
.long 0xD3B24010, 0x18034110
.long 0xBF8C0F75
.long 0xD3B24010, 0x18035110
.long 0xBF8C0F74
.long 0xD3B24010, 0x18036110
.long 0xBF8C0F73
.long 0xD3B24010, 0x18037110
.long 0xBF8C0F72
.long 0xD3B24010, 0x18038110
.long 0xBF8C0F71
.long 0xD3B24010, 0x18039110
.long 0xBF8C0F70
.long 0xD3B24010, 0x1803A110
.long 0xBF8200AF
.long 0xBF8C0F79
.long 0xD3B24010, 0x18030110
.long 0xBF8C0F78
.long 0xD3B24010, 0x18031110
	;; [unrolled: 2-line block ×10, first 2 shown]
.long 0xBF820090
.long 0xBF8C0F78
.long 0xD3B24010, 0x18030110
.long 0xBF8C0F77
.long 0xD3B24010, 0x18031110
	;; [unrolled: 2-line block ×9, first 2 shown]
.long 0xBF820074
.long 0xBF8C0F77
.long 0xD3B24010, 0x18030110
.long 0xBF8C0F76
.long 0xD3B24010, 0x18031110
	;; [unrolled: 2-line block ×8, first 2 shown]
.long 0xBF82005B
.long 0xBF8C0F76
.long 0xD3B24010, 0x18030110
.long 0xBF8C0F75
.long 0xD3B24010, 0x18031110
	;; [unrolled: 2-line block ×7, first 2 shown]
.long 0xBF820045
.long 0xBF8C0F75
.long 0xD3B24010, 0x18030110
.long 0xBF8C0F74
.long 0xD3B24010, 0x18031110
	;; [unrolled: 2-line block ×6, first 2 shown]
.long 0xBF820032
.long 0xBF8C0F74
.long 0xD3B24010, 0x18030110
.long 0xBF8C0F73
.long 0xD3B24010, 0x18031110
	;; [unrolled: 2-line block ×5, first 2 shown]
.long 0xBF820022
.long 0xBF8C0F73
.long 0xD3B24010, 0x18030110
.long 0xBF8C0F72
.long 0xD3B24010, 0x18031110
	;; [unrolled: 2-line block ×4, first 2 shown]
.long 0xBF820015
.long 0xBF8C0F72
.long 0xD3B24010, 0x18030110
.long 0xBF8C0F71
.long 0xD3B24010, 0x18031110
	;; [unrolled: 2-line block ×3, first 2 shown]
.long 0xBF82000B
.long 0xBF8C0F71
.long 0xD3B24010, 0x18030110
.long 0xBF8C0F70
.long 0xD3B24010, 0x18031110
.long 0xBF820004
.long 0xBF8C0F70
.long 0xD3B24010, 0x18030110
.long 0xBF820000
.long 0x7E1602FF, 0x80000000
.long 0xBEDC0016
.long 0xBEDD0017
	;; [unrolled: 1-line block ×9, first 2 shown]
.long 0xE054D000, 0x80171206
.long 0xBE850032
.long 0x81858105
	;; [unrolled: 1-line block ×6, first 2 shown]
.long 0xE054D000, 0x80178006
.long 0x81858105
.long 0x805C565C
.long 0x825D575D
.long 0xBF008005
.long 0xBF850276
.long 0xE054D000, 0x80178806
.long 0x81858105
.long 0x805C565C
.long 0x825D575D
.long 0xBF008005
.long 0xBF850268
.long 0xE054D000, 0x80179006
.long 0x81858105
.long 0x805C565C
.long 0x825D575D
.long 0xBF008005
.long 0xBF850257
.long 0xE054D000, 0x80179806
.long 0x81858105
.long 0x805C565C
.long 0x825D575D
.long 0xBF008005
.long 0xBF850243
.long 0xE054D000, 0x8017A006
.long 0x81858105
.long 0x805C565C
.long 0x825D575D
.long 0xBF008005
.long 0xBF85022C
.long 0xE054D000, 0x8017A806
.long 0x81858105
.long 0x805C565C
.long 0x825D575D
.long 0xBF008005
.long 0xBF850212
.long 0xE054D000, 0x8017B006
.long 0x81858105
.long 0x805C565C
.long 0x825D575D
.long 0xBF008005
.long 0xBF8501F5
.long 0xE054D000, 0x8017B806
.long 0x81858105
.long 0x805C565C
.long 0x825D575D
.long 0xBF008005
.long 0xBF8501D5
.long 0xE054D000, 0x8017C006
.long 0x81858105
.long 0x805C565C
.long 0x825D575D
.long 0xBF008005
.long 0xBF8501B2
.long 0xE054D000, 0x8017C806
.long 0x81858105
.long 0x805C565C
.long 0x825D575D
.long 0xBF008005
.long 0xBF85018C
.long 0xE054D000, 0x8017D006
.long 0x81858105
.long 0x805C565C
.long 0x825D575D
.long 0xBF008005
.long 0xBF850163
.long 0xE054D000, 0x8017D806
.long 0x81858105
.long 0x805C565C
.long 0x825D575D
.long 0xBF008005
.long 0xBF850137
.long 0xE054D000, 0x8017E006
.long 0x81858105
.long 0x805C565C
.long 0x825D575D
.long 0xBF008005
.long 0xBF850108
.long 0xE054D000, 0x8017E806
.long 0x81858105
.long 0x805C565C
.long 0x825D575D
.long 0xBF008005
.long 0xBF8500D6
.long 0xE054D000, 0x8017F006
.long 0xBF8C0F7E
.long 0xD3B24012, 0x18030112
.long 0x81858105
.long 0xBF05CE05
.long 0xBF850217
.long 0x805C565C
.long 0x825D575D
.long 0xD0C60058, 0x00000A80
.long 0xD1000018, 0x01621706
.long 0xE054D000, 0x80178018
.long 0xBF8C0F7E
.long 0xD3B24012, 0x18031112
.long 0x81858105
.long 0xBF05CE05
.long 0xBF850209
.long 0x805C565C
.long 0x825D575D
.long 0xD0C60058, 0x00000A80
.long 0xD1000018, 0x01621706
.long 0xE054D000, 0x80178818
.long 0xBF8C0F7E
.long 0xD3B24012, 0x18032112
.long 0x81858105
.long 0xBF05CE05
.long 0xBF8501FB
.long 0x805C565C
.long 0x825D575D
.long 0xD0C60058, 0x00000A80
.long 0xD1000018, 0x01621706
.long 0xE054D000, 0x80179018
.long 0xBF8C0F7E
.long 0xD3B24012, 0x18033112
.long 0x81858105
.long 0xBF05CE05
.long 0xBF8501ED
.long 0x805C565C
.long 0x825D575D
.long 0xD0C60058, 0x00000A80
.long 0xD1000018, 0x01621706
.long 0xE054D000, 0x80179818
.long 0xBF8C0F7E
.long 0xD3B24012, 0x18034112
.long 0x81858105
.long 0xBF05CE05
.long 0xBF8501DF
.long 0x805C565C
.long 0x825D575D
.long 0xD0C60058, 0x00000A80
.long 0xD1000018, 0x01621706
.long 0xE054D000, 0x8017A018
.long 0xBF8C0F7E
.long 0xD3B24012, 0x18035112
.long 0x81858105
.long 0xBF05CE05
.long 0xBF8501D1
.long 0x805C565C
.long 0x825D575D
.long 0xD0C60058, 0x00000A80
.long 0xD1000018, 0x01621706
.long 0xE054D000, 0x8017A818
.long 0xBF8C0F7E
.long 0xD3B24012, 0x18036112
.long 0x81858105
.long 0xBF05CE05
.long 0xBF8501C3
.long 0x805C565C
.long 0x825D575D
.long 0xD0C60058, 0x00000A80
.long 0xD1000018, 0x01621706
.long 0xE054D000, 0x8017B018
.long 0xBF8C0F7E
.long 0xD3B24012, 0x18037112
.long 0x81858105
.long 0xBF05CE05
.long 0xBF8501B5
.long 0x805C565C
.long 0x825D575D
.long 0xD0C60058, 0x00000A80
.long 0xD1000018, 0x01621706
.long 0xE054D000, 0x8017B818
.long 0xBF8C0F7E
.long 0xD3B24012, 0x18038112
.long 0x81858105
.long 0xBF05CE05
.long 0xBF8501A7
.long 0x805C565C
.long 0x825D575D
.long 0xD0C60058, 0x00000A80
.long 0xD1000018, 0x01621706
.long 0xE054D000, 0x8017C018
.long 0xBF8C0F7E
.long 0xD3B24012, 0x18039112
.long 0x81858105
.long 0xBF05CE05
.long 0xBF850199
.long 0x805C565C
.long 0x825D575D
.long 0xD0C60058, 0x00000A80
.long 0xD1000018, 0x01621706
.long 0xE054D000, 0x8017C818
.long 0xBF8C0F7E
.long 0xD3B24012, 0x1803A112
.long 0x81858105
.long 0xBF05CE05
.long 0xBF85018B
.long 0x805C565C
.long 0x825D575D
.long 0xD0C60058, 0x00000A80
.long 0xD1000018, 0x01621706
.long 0xE054D000, 0x8017D018
.long 0xBF8C0F7E
.long 0xD3B24012, 0x1803B112
.long 0x81858105
.long 0xBF05CE05
.long 0xBF85017D
.long 0x805C565C
.long 0x825D575D
.long 0xD0C60058, 0x00000A80
.long 0xD1000018, 0x01621706
.long 0xE054D000, 0x8017D818
.long 0xBF8C0F7E
.long 0xD3B24012, 0x1803C112
.long 0x81858105
.long 0xBF05CE05
.long 0xBF85016F
.long 0x805C565C
.long 0x825D575D
.long 0xD0C60058, 0x00000A80
.long 0xD1000018, 0x01621706
.long 0xE054D000, 0x8017E018
.long 0xBF8C0F7E
.long 0xD3B24012, 0x1803D112
.long 0x81858105
.long 0xBF05CE05
.long 0xBF850161
.long 0x805C565C
.long 0x825D575D
.long 0xD0C60058, 0x00000A80
.long 0xD1000018, 0x01621706
.long 0xE054D000, 0x8017E818
.long 0xBF8C0F7E
.long 0xD3B24012, 0x1803E112
.long 0x81858105
.long 0xBF05CE05
.long 0xBF850153
.long 0x805C565C
.long 0x825D575D
.long 0xD0C60058, 0x00000A80
.long 0xD1000018, 0x01621706
.long 0xE054D000, 0x8017F018
.long 0xBF02CE05
.long 0xBF85FF2C
	;; [unrolled: 1-line block ×3, first 2 shown]
.long 0xD3B24012, 0x18030112
.long 0xBF8C0F7C
.long 0xD3B24012, 0x18031112
.long 0xBF8C0F7B
	;; [unrolled: 2-line block ×14, first 2 shown]
.long 0xBF8C0F7C
.long 0xD3B24012, 0x18030112
.long 0xBF8C0F7B
.long 0xD3B24012, 0x18031112
	;; [unrolled: 2-line block ×13, first 2 shown]
.long 0xBF8200F6
.long 0xBF8C0F7B
.long 0xD3B24012, 0x18030112
.long 0xBF8C0F7A
.long 0xD3B24012, 0x18031112
	;; [unrolled: 2-line block ×12, first 2 shown]
.long 0xBF8200D1
.long 0xBF8C0F7A
.long 0xD3B24012, 0x18030112
.long 0xBF8C0F79
.long 0xD3B24012, 0x18031112
	;; [unrolled: 2-line block ×11, first 2 shown]
.long 0xBF8200AF
.long 0xBF8C0F79
.long 0xD3B24012, 0x18030112
.long 0xBF8C0F78
.long 0xD3B24012, 0x18031112
	;; [unrolled: 2-line block ×10, first 2 shown]
.long 0xBF820090
.long 0xBF8C0F78
.long 0xD3B24012, 0x18030112
.long 0xBF8C0F77
.long 0xD3B24012, 0x18031112
	;; [unrolled: 2-line block ×9, first 2 shown]
.long 0xBF820074
.long 0xBF8C0F77
.long 0xD3B24012, 0x18030112
.long 0xBF8C0F76
.long 0xD3B24012, 0x18031112
	;; [unrolled: 2-line block ×8, first 2 shown]
.long 0xBF82005B
.long 0xBF8C0F76
.long 0xD3B24012, 0x18030112
.long 0xBF8C0F75
.long 0xD3B24012, 0x18031112
	;; [unrolled: 2-line block ×7, first 2 shown]
.long 0xBF820045
.long 0xBF8C0F75
.long 0xD3B24012, 0x18030112
.long 0xBF8C0F74
.long 0xD3B24012, 0x18031112
	;; [unrolled: 2-line block ×6, first 2 shown]
.long 0xBF820032
.long 0xBF8C0F74
.long 0xD3B24012, 0x18030112
.long 0xBF8C0F73
.long 0xD3B24012, 0x18031112
	;; [unrolled: 2-line block ×5, first 2 shown]
.long 0xBF820022
.long 0xBF8C0F73
.long 0xD3B24012, 0x18030112
.long 0xBF8C0F72
.long 0xD3B24012, 0x18031112
	;; [unrolled: 2-line block ×4, first 2 shown]
.long 0xBF820015
.long 0xBF8C0F72
.long 0xD3B24012, 0x18030112
.long 0xBF8C0F71
.long 0xD3B24012, 0x18031112
	;; [unrolled: 2-line block ×3, first 2 shown]
.long 0xBF82000B
.long 0xBF8C0F71
.long 0xD3B24012, 0x18030112
.long 0xBF8C0F70
.long 0xD3B24012, 0x18031112
.long 0xBF820004
.long 0xBF8C0F70
.long 0xD3B24012, 0x18030112
.long 0xBF820000
.long 0x7E1602FF, 0x80000000
.long 0xBEDC0016
.long 0xBEDD0017
	;; [unrolled: 1-line block ×9, first 2 shown]
.long 0xE054D000, 0x80171406
.long 0xBE850032
.long 0x81858105
	;; [unrolled: 1-line block ×6, first 2 shown]
.long 0xE054D000, 0x80178006
.long 0x81858105
.long 0x805C565C
.long 0x825D575D
.long 0xBF008005
.long 0xBF850276
.long 0xE054D000, 0x80178806
.long 0x81858105
.long 0x805C565C
.long 0x825D575D
.long 0xBF008005
.long 0xBF850268
	;; [unrolled: 6-line block ×14, first 2 shown]
.long 0xE054D000, 0x8017F006
.long 0xBF8C0F7E
.long 0xD3B24014, 0x18030114
.long 0x81858105
.long 0xBF05CE05
.long 0xBF850217
.long 0x805C565C
.long 0x825D575D
.long 0xD0C60058, 0x00000A80
.long 0xD1000018, 0x01621706
.long 0xE054D000, 0x80178018
.long 0xBF8C0F7E
.long 0xD3B24014, 0x18031114
.long 0x81858105
.long 0xBF05CE05
.long 0xBF850209
.long 0x805C565C
.long 0x825D575D
.long 0xD0C60058, 0x00000A80
.long 0xD1000018, 0x01621706
	;; [unrolled: 10-line block ×15, first 2 shown]
.long 0xE054D000, 0x8017F018
.long 0xBF02CE05
.long 0xBF85FF2C
	;; [unrolled: 1-line block ×3, first 2 shown]
.long 0xD3B24014, 0x18030114
.long 0xBF8C0F7C
.long 0xD3B24014, 0x18031114
.long 0xBF8C0F7B
	;; [unrolled: 2-line block ×14, first 2 shown]
.long 0xBF8C0F7C
.long 0xD3B24014, 0x18030114
.long 0xBF8C0F7B
.long 0xD3B24014, 0x18031114
	;; [unrolled: 2-line block ×13, first 2 shown]
.long 0xBF8200F6
.long 0xBF8C0F7B
.long 0xD3B24014, 0x18030114
.long 0xBF8C0F7A
.long 0xD3B24014, 0x18031114
	;; [unrolled: 2-line block ×12, first 2 shown]
.long 0xBF8200D1
.long 0xBF8C0F7A
.long 0xD3B24014, 0x18030114
.long 0xBF8C0F79
.long 0xD3B24014, 0x18031114
	;; [unrolled: 2-line block ×11, first 2 shown]
.long 0xBF8200AF
.long 0xBF8C0F79
.long 0xD3B24014, 0x18030114
.long 0xBF8C0F78
.long 0xD3B24014, 0x18031114
	;; [unrolled: 2-line block ×10, first 2 shown]
.long 0xBF820090
.long 0xBF8C0F78
.long 0xD3B24014, 0x18030114
.long 0xBF8C0F77
.long 0xD3B24014, 0x18031114
	;; [unrolled: 2-line block ×9, first 2 shown]
.long 0xBF820074
.long 0xBF8C0F77
.long 0xD3B24014, 0x18030114
.long 0xBF8C0F76
.long 0xD3B24014, 0x18031114
	;; [unrolled: 2-line block ×8, first 2 shown]
.long 0xBF82005B
.long 0xBF8C0F76
.long 0xD3B24014, 0x18030114
.long 0xBF8C0F75
.long 0xD3B24014, 0x18031114
	;; [unrolled: 2-line block ×7, first 2 shown]
.long 0xBF820045
.long 0xBF8C0F75
.long 0xD3B24014, 0x18030114
.long 0xBF8C0F74
.long 0xD3B24014, 0x18031114
	;; [unrolled: 2-line block ×6, first 2 shown]
.long 0xBF820032
.long 0xBF8C0F74
.long 0xD3B24014, 0x18030114
.long 0xBF8C0F73
.long 0xD3B24014, 0x18031114
.long 0xBF8C0F72
.long 0xD3B24014, 0x18032114
.long 0xBF8C0F71
.long 0xD3B24014, 0x18033114
.long 0xBF8C0F70
.long 0xD3B24014, 0x18034114
.long 0xBF820022
.long 0xBF8C0F73
.long 0xD3B24014, 0x18030114
.long 0xBF8C0F72
.long 0xD3B24014, 0x18031114
	;; [unrolled: 2-line block ×4, first 2 shown]
.long 0xBF820015
.long 0xBF8C0F72
.long 0xD3B24014, 0x18030114
.long 0xBF8C0F71
.long 0xD3B24014, 0x18031114
	;; [unrolled: 2-line block ×3, first 2 shown]
.long 0xBF82000B
.long 0xBF8C0F71
.long 0xD3B24014, 0x18030114
.long 0xBF8C0F70
.long 0xD3B24014, 0x18031114
.long 0xBF820004
.long 0xBF8C0F70
.long 0xD3B24014, 0x18030114
.long 0xBF820000
.long 0x7E1602FF, 0x80000000
.long 0xBEDC0016
.long 0xBEDD0017
.long 0xBEDE000E
.long 0xBEDF000F
.long 0x8E588228
.long 0x805C585C
.long 0x825D805D
.long 0x80165816
.long 0x82178017
.long 0xE054D000, 0x80171606
.long 0xBE850032
.long 0x81858105
	;; [unrolled: 1-line block ×6, first 2 shown]
.long 0xE054D000, 0x80178006
.long 0x81858105
.long 0x805C565C
.long 0x825D575D
.long 0xBF008005
.long 0xBF850276
.long 0xE054D000, 0x80178806
.long 0x81858105
.long 0x805C565C
.long 0x825D575D
.long 0xBF008005
.long 0xBF850268
	;; [unrolled: 6-line block ×14, first 2 shown]
.long 0xE054D000, 0x8017F006
.long 0xBF8C0F7E
.long 0xD3B24016, 0x18030116
.long 0x81858105
.long 0xBF05CE05
.long 0xBF850217
.long 0x805C565C
.long 0x825D575D
.long 0xD0C60058, 0x00000A80
.long 0xD1000018, 0x01621706
.long 0xE054D000, 0x80178018
.long 0xBF8C0F7E
.long 0xD3B24016, 0x18031116
.long 0x81858105
.long 0xBF05CE05
.long 0xBF850209
.long 0x805C565C
.long 0x825D575D
.long 0xD0C60058, 0x00000A80
.long 0xD1000018, 0x01621706
	;; [unrolled: 10-line block ×15, first 2 shown]
.long 0xE054D000, 0x8017F018
.long 0xBF02CE05
.long 0xBF85FF2C
	;; [unrolled: 1-line block ×3, first 2 shown]
.long 0xD3B24016, 0x18030116
.long 0xBF8C0F7C
.long 0xD3B24016, 0x18031116
.long 0xBF8C0F7B
.long 0xD3B24016, 0x18032116
.long 0xBF8C0F7A
.long 0xD3B24016, 0x18033116
.long 0xBF8C0F79
.long 0xD3B24016, 0x18034116
.long 0xBF8C0F78
.long 0xD3B24016, 0x18035116
.long 0xBF8C0F77
.long 0xD3B24016, 0x18036116
.long 0xBF8C0F76
.long 0xD3B24016, 0x18037116
.long 0xBF8C0F75
.long 0xD3B24016, 0x18038116
.long 0xBF8C0F74
.long 0xD3B24016, 0x18039116
.long 0xBF8C0F73
.long 0xD3B24016, 0x1803A116
.long 0xBF8C0F72
.long 0xD3B24016, 0x1803B116
.long 0xBF8C0F71
.long 0xD3B24016, 0x1803C116
.long 0xBF8C0F70
.long 0xD3B24016, 0x1803D116
.long 0xBF82011E
.long 0xBF8C0F7C
.long 0xD3B24016, 0x18030116
.long 0xBF8C0F7B
.long 0xD3B24016, 0x18031116
	;; [unrolled: 2-line block ×13, first 2 shown]
.long 0xBF8200F6
.long 0xBF8C0F7B
.long 0xD3B24016, 0x18030116
.long 0xBF8C0F7A
.long 0xD3B24016, 0x18031116
	;; [unrolled: 2-line block ×12, first 2 shown]
.long 0xBF8200D1
.long 0xBF8C0F7A
.long 0xD3B24016, 0x18030116
.long 0xBF8C0F79
.long 0xD3B24016, 0x18031116
	;; [unrolled: 2-line block ×11, first 2 shown]
.long 0xBF8200AF
.long 0xBF8C0F79
.long 0xD3B24016, 0x18030116
.long 0xBF8C0F78
.long 0xD3B24016, 0x18031116
	;; [unrolled: 2-line block ×10, first 2 shown]
.long 0xBF820090
.long 0xBF8C0F78
.long 0xD3B24016, 0x18030116
.long 0xBF8C0F77
.long 0xD3B24016, 0x18031116
	;; [unrolled: 2-line block ×9, first 2 shown]
.long 0xBF820074
.long 0xBF8C0F77
.long 0xD3B24016, 0x18030116
.long 0xBF8C0F76
.long 0xD3B24016, 0x18031116
	;; [unrolled: 2-line block ×8, first 2 shown]
.long 0xBF82005B
.long 0xBF8C0F76
.long 0xD3B24016, 0x18030116
.long 0xBF8C0F75
.long 0xD3B24016, 0x18031116
	;; [unrolled: 2-line block ×7, first 2 shown]
.long 0xBF820045
.long 0xBF8C0F75
.long 0xD3B24016, 0x18030116
.long 0xBF8C0F74
.long 0xD3B24016, 0x18031116
	;; [unrolled: 2-line block ×6, first 2 shown]
.long 0xBF820032
.long 0xBF8C0F74
.long 0xD3B24016, 0x18030116
.long 0xBF8C0F73
.long 0xD3B24016, 0x18031116
	;; [unrolled: 2-line block ×5, first 2 shown]
.long 0xBF820022
.long 0xBF8C0F73
.long 0xD3B24016, 0x18030116
.long 0xBF8C0F72
.long 0xD3B24016, 0x18031116
	;; [unrolled: 2-line block ×4, first 2 shown]
.long 0xBF820015
.long 0xBF8C0F72
.long 0xD3B24016, 0x18030116
.long 0xBF8C0F71
.long 0xD3B24016, 0x18031116
	;; [unrolled: 2-line block ×3, first 2 shown]
.long 0xBF82000B
.long 0xBF8C0F71
.long 0xD3B24016, 0x18030116
.long 0xBF8C0F70
.long 0xD3B24016, 0x18031116
.long 0xBF820004
.long 0xBF8C0F70
.long 0xD3B24016, 0x18030116
.long 0xBF820000
.long 0x0A202030
	;; [unrolled: 1-line block ×9, first 2 shown]
.long 0xD0CC0038, 0x0001004A
.long 0xD100000E, 0x00E21CF2
	;; [unrolled: 1-line block ×5, first 2 shown]
.long 0x7E201510
.long 0x7E221511
.long 0xD2A00010, 0x00022310
.long 0xE070D000, 0x80141007
.long 0xBF800000
.long 0xD0CC0038, 0x0001004A
.long 0xD100000E, 0x00E21CF2
.long 0xD100000F, 0x00E21EF2
.long 0xD3B14012, 0x1802250E
.long 0xD3B24012, 0x1802250C
.long 0x7E241512
.long 0x7E261513
.long 0xD2A00012, 0x00022712
.long 0x8E428128
.long 0x80504250
.long 0x82518051
.long 0xE070D000, 0x80141207
.long 0xBF800000
.long 0xD0CC0038, 0x0001004A
.long 0xD100000E, 0x00E21CF2
.long 0xD100000F, 0x00E21EF2
.long 0xD3B14014, 0x1802290E
.long 0xD3B24014, 0x1802290C
.long 0x7E281514
.long 0x7E2A1515
.long 0xD2A00014, 0x00022B14
.long 0x8E428128
.long 0x80504250
.long 0x82518051
	;; [unrolled: 13-line block ×3, first 2 shown]
.long 0xE070D000, 0x80141607
.long 0xBF800000
.long 0xBF800000
	;; [unrolled: 1-line block ×3, first 2 shown]
.long 0x815684FF, 0x00016700
.long 0x80545654
.long 0x82558055
	;; [unrolled: 1-line block ×3, first 2 shown]
.long 0x924202FF, 0x00000080
.long 0xD1350009, 0x00008500
.long 0x24121282
.long 0xBF8CC07F
	;; [unrolled: 1-line block ×3, first 2 shown]
.long 0xD8EC0000, 0x0C000009
.long 0x24140082
.long 0xE0541000, 0x80120E0A
.long 0xD1FE0006, 0x020A0103
	;; [unrolled: 1-line block ×11, first 2 shown]
.long 0xBF800001
.long 0xE074D000, 0x80031006
.long 0x8E428228
.long 0x800C420C
.long 0x820D800D
.long 0xE074D000, 0x80031206
.long 0x8E428228
.long 0x800C420C
	;; [unrolled: 4-line block ×4, first 2 shown]
.long 0x92330454
.long 0x92411403
	;; [unrolled: 1-line block ×14, first 2 shown]
.long 0xC2330CCC, 0x00000000
.long 0x965B811C
.long 0x925A811C
	;; [unrolled: 1-line block ×15, first 2 shown]
.long 0x7E1602FF, 0x80000000
.long 0xBEDC0016
.long 0xBEDD0017
	;; [unrolled: 1-line block ×7, first 2 shown]
.long 0xE054D000, 0x80171006
.long 0xBE850032
.long 0x81858105
	;; [unrolled: 1-line block ×6, first 2 shown]
.long 0xE054D000, 0x80178006
.long 0x81858105
.long 0x805C565C
.long 0x825D575D
.long 0xBF008005
.long 0xBF850276
.long 0xE054D000, 0x80178806
.long 0x81858105
.long 0x805C565C
.long 0x825D575D
.long 0xBF008005
.long 0xBF850268
	;; [unrolled: 6-line block ×14, first 2 shown]
.long 0xE054D000, 0x8017F006
.long 0xBF8C0F7E
.long 0xD3B24010, 0x18030110
.long 0x81858105
.long 0xBF05CE05
.long 0xBF850217
.long 0x805C565C
.long 0x825D575D
.long 0xD0C60058, 0x00000A80
.long 0xD1000018, 0x01621706
.long 0xE054D000, 0x80178018
.long 0xBF8C0F7E
.long 0xD3B24010, 0x18031110
.long 0x81858105
.long 0xBF05CE05
.long 0xBF850209
.long 0x805C565C
.long 0x825D575D
.long 0xD0C60058, 0x00000A80
.long 0xD1000018, 0x01621706
	;; [unrolled: 10-line block ×15, first 2 shown]
.long 0xE054D000, 0x8017F018
.long 0xBF02CE05
.long 0xBF85FF2C
	;; [unrolled: 1-line block ×3, first 2 shown]
.long 0xD3B24010, 0x18030110
.long 0xBF8C0F7C
.long 0xD3B24010, 0x18031110
.long 0xBF8C0F7B
	;; [unrolled: 2-line block ×14, first 2 shown]
.long 0xBF8C0F7C
.long 0xD3B24010, 0x18030110
.long 0xBF8C0F7B
.long 0xD3B24010, 0x18031110
	;; [unrolled: 2-line block ×13, first 2 shown]
.long 0xBF8200F6
.long 0xBF8C0F7B
.long 0xD3B24010, 0x18030110
.long 0xBF8C0F7A
.long 0xD3B24010, 0x18031110
	;; [unrolled: 2-line block ×12, first 2 shown]
.long 0xBF8200D1
.long 0xBF8C0F7A
.long 0xD3B24010, 0x18030110
.long 0xBF8C0F79
.long 0xD3B24010, 0x18031110
	;; [unrolled: 2-line block ×11, first 2 shown]
.long 0xBF8200AF
.long 0xBF8C0F79
.long 0xD3B24010, 0x18030110
.long 0xBF8C0F78
.long 0xD3B24010, 0x18031110
	;; [unrolled: 2-line block ×10, first 2 shown]
.long 0xBF820090
.long 0xBF8C0F78
.long 0xD3B24010, 0x18030110
.long 0xBF8C0F77
.long 0xD3B24010, 0x18031110
	;; [unrolled: 2-line block ×9, first 2 shown]
.long 0xBF820074
.long 0xBF8C0F77
.long 0xD3B24010, 0x18030110
.long 0xBF8C0F76
.long 0xD3B24010, 0x18031110
	;; [unrolled: 2-line block ×8, first 2 shown]
.long 0xBF82005B
.long 0xBF8C0F76
.long 0xD3B24010, 0x18030110
.long 0xBF8C0F75
.long 0xD3B24010, 0x18031110
	;; [unrolled: 2-line block ×7, first 2 shown]
.long 0xBF820045
.long 0xBF8C0F75
.long 0xD3B24010, 0x18030110
.long 0xBF8C0F74
.long 0xD3B24010, 0x18031110
.long 0xBF8C0F73
.long 0xD3B24010, 0x18032110
.long 0xBF8C0F72
.long 0xD3B24010, 0x18033110
.long 0xBF8C0F71
.long 0xD3B24010, 0x18034110
.long 0xBF8C0F70
.long 0xD3B24010, 0x18035110
.long 0xBF820032
.long 0xBF8C0F74
.long 0xD3B24010, 0x18030110
.long 0xBF8C0F73
.long 0xD3B24010, 0x18031110
.long 0xBF8C0F72
.long 0xD3B24010, 0x18032110
.long 0xBF8C0F71
.long 0xD3B24010, 0x18033110
.long 0xBF8C0F70
.long 0xD3B24010, 0x18034110
.long 0xBF820022
.long 0xBF8C0F73
.long 0xD3B24010, 0x18030110
.long 0xBF8C0F72
.long 0xD3B24010, 0x18031110
	;; [unrolled: 2-line block ×4, first 2 shown]
.long 0xBF820015
.long 0xBF8C0F72
.long 0xD3B24010, 0x18030110
.long 0xBF8C0F71
.long 0xD3B24010, 0x18031110
	;; [unrolled: 2-line block ×3, first 2 shown]
.long 0xBF82000B
.long 0xBF8C0F71
.long 0xD3B24010, 0x18030110
.long 0xBF8C0F70
.long 0xD3B24010, 0x18031110
.long 0xBF820004
.long 0xBF8C0F70
.long 0xD3B24010, 0x18030110
.long 0xBF820000
.long 0x7E1602FF, 0x80000000
.long 0xBEDC0016
.long 0xBEDD0017
	;; [unrolled: 1-line block ×9, first 2 shown]
.long 0xE054D000, 0x80171206
.long 0xBE850032
.long 0x81858105
	;; [unrolled: 1-line block ×6, first 2 shown]
.long 0xE054D000, 0x80178006
.long 0x81858105
.long 0x805C565C
.long 0x825D575D
.long 0xBF008005
.long 0xBF850276
.long 0xE054D000, 0x80178806
.long 0x81858105
.long 0x805C565C
.long 0x825D575D
.long 0xBF008005
.long 0xBF850268
	;; [unrolled: 6-line block ×14, first 2 shown]
.long 0xE054D000, 0x8017F006
.long 0xBF8C0F7E
.long 0xD3B24012, 0x18030112
.long 0x81858105
.long 0xBF05CE05
.long 0xBF850217
.long 0x805C565C
.long 0x825D575D
.long 0xD0C60058, 0x00000A80
.long 0xD1000018, 0x01621706
.long 0xE054D000, 0x80178018
.long 0xBF8C0F7E
.long 0xD3B24012, 0x18031112
.long 0x81858105
.long 0xBF05CE05
.long 0xBF850209
.long 0x805C565C
.long 0x825D575D
.long 0xD0C60058, 0x00000A80
.long 0xD1000018, 0x01621706
	;; [unrolled: 10-line block ×15, first 2 shown]
.long 0xE054D000, 0x8017F018
.long 0xBF02CE05
.long 0xBF85FF2C
	;; [unrolled: 1-line block ×3, first 2 shown]
.long 0xD3B24012, 0x18030112
.long 0xBF8C0F7C
.long 0xD3B24012, 0x18031112
.long 0xBF8C0F7B
	;; [unrolled: 2-line block ×14, first 2 shown]
.long 0xBF8C0F7C
.long 0xD3B24012, 0x18030112
.long 0xBF8C0F7B
.long 0xD3B24012, 0x18031112
	;; [unrolled: 2-line block ×13, first 2 shown]
.long 0xBF8200F6
.long 0xBF8C0F7B
.long 0xD3B24012, 0x18030112
.long 0xBF8C0F7A
.long 0xD3B24012, 0x18031112
	;; [unrolled: 2-line block ×12, first 2 shown]
.long 0xBF8200D1
.long 0xBF8C0F7A
.long 0xD3B24012, 0x18030112
.long 0xBF8C0F79
.long 0xD3B24012, 0x18031112
.long 0xBF8C0F78
.long 0xD3B24012, 0x18032112
.long 0xBF8C0F77
.long 0xD3B24012, 0x18033112
.long 0xBF8C0F76
.long 0xD3B24012, 0x18034112
.long 0xBF8C0F75
.long 0xD3B24012, 0x18035112
.long 0xBF8C0F74
.long 0xD3B24012, 0x18036112
.long 0xBF8C0F73
.long 0xD3B24012, 0x18037112
.long 0xBF8C0F72
.long 0xD3B24012, 0x18038112
.long 0xBF8C0F71
.long 0xD3B24012, 0x18039112
.long 0xBF8C0F70
.long 0xD3B24012, 0x1803A112
.long 0xBF8200AF
.long 0xBF8C0F79
.long 0xD3B24012, 0x18030112
.long 0xBF8C0F78
.long 0xD3B24012, 0x18031112
.long 0xBF8C0F77
.long 0xD3B24012, 0x18032112
.long 0xBF8C0F76
.long 0xD3B24012, 0x18033112
.long 0xBF8C0F75
.long 0xD3B24012, 0x18034112
.long 0xBF8C0F74
.long 0xD3B24012, 0x18035112
.long 0xBF8C0F73
.long 0xD3B24012, 0x18036112
.long 0xBF8C0F72
.long 0xD3B24012, 0x18037112
.long 0xBF8C0F71
.long 0xD3B24012, 0x18038112
.long 0xBF8C0F70
.long 0xD3B24012, 0x18039112
.long 0xBF820090
.long 0xBF8C0F78
.long 0xD3B24012, 0x18030112
.long 0xBF8C0F77
.long 0xD3B24012, 0x18031112
	;; [unrolled: 2-line block ×9, first 2 shown]
.long 0xBF820074
.long 0xBF8C0F77
.long 0xD3B24012, 0x18030112
.long 0xBF8C0F76
.long 0xD3B24012, 0x18031112
	;; [unrolled: 2-line block ×8, first 2 shown]
.long 0xBF82005B
.long 0xBF8C0F76
.long 0xD3B24012, 0x18030112
.long 0xBF8C0F75
.long 0xD3B24012, 0x18031112
	;; [unrolled: 2-line block ×7, first 2 shown]
.long 0xBF820045
.long 0xBF8C0F75
.long 0xD3B24012, 0x18030112
.long 0xBF8C0F74
.long 0xD3B24012, 0x18031112
	;; [unrolled: 2-line block ×6, first 2 shown]
.long 0xBF820032
.long 0xBF8C0F74
.long 0xD3B24012, 0x18030112
.long 0xBF8C0F73
.long 0xD3B24012, 0x18031112
	;; [unrolled: 2-line block ×5, first 2 shown]
.long 0xBF820022
.long 0xBF8C0F73
.long 0xD3B24012, 0x18030112
.long 0xBF8C0F72
.long 0xD3B24012, 0x18031112
	;; [unrolled: 2-line block ×4, first 2 shown]
.long 0xBF820015
.long 0xBF8C0F72
.long 0xD3B24012, 0x18030112
.long 0xBF8C0F71
.long 0xD3B24012, 0x18031112
	;; [unrolled: 2-line block ×3, first 2 shown]
.long 0xBF82000B
.long 0xBF8C0F71
.long 0xD3B24012, 0x18030112
.long 0xBF8C0F70
.long 0xD3B24012, 0x18031112
.long 0xBF820004
.long 0xBF8C0F70
.long 0xD3B24012, 0x18030112
.long 0xBF820000
.long 0x7E1602FF, 0x80000000
.long 0xBEDC0016
.long 0xBEDD0017
	;; [unrolled: 1-line block ×9, first 2 shown]
.long 0xE054D000, 0x80171406
.long 0xBE850032
.long 0x81858105
.long 0x805C565C
.long 0x825D575D
.long 0xBF008005
.long 0xBF850281
.long 0xE054D000, 0x80178006
.long 0x81858105
.long 0x805C565C
.long 0x825D575D
.long 0xBF008005
.long 0xBF850276
.long 0xE054D000, 0x80178806
.long 0x81858105
.long 0x805C565C
.long 0x825D575D
.long 0xBF008005
.long 0xBF850268
	;; [unrolled: 6-line block ×14, first 2 shown]
.long 0xE054D000, 0x8017F006
.long 0xBF8C0F7E
.long 0xD3B24014, 0x18030114
.long 0x81858105
.long 0xBF05CE05
.long 0xBF850217
.long 0x805C565C
.long 0x825D575D
.long 0xD0C60058, 0x00000A80
.long 0xD1000018, 0x01621706
.long 0xE054D000, 0x80178018
.long 0xBF8C0F7E
.long 0xD3B24014, 0x18031114
.long 0x81858105
.long 0xBF05CE05
.long 0xBF850209
.long 0x805C565C
.long 0x825D575D
.long 0xD0C60058, 0x00000A80
.long 0xD1000018, 0x01621706
	;; [unrolled: 10-line block ×15, first 2 shown]
.long 0xE054D000, 0x8017F018
.long 0xBF02CE05
.long 0xBF85FF2C
	;; [unrolled: 1-line block ×3, first 2 shown]
.long 0xD3B24014, 0x18030114
.long 0xBF8C0F7C
.long 0xD3B24014, 0x18031114
.long 0xBF8C0F7B
	;; [unrolled: 2-line block ×14, first 2 shown]
.long 0xBF8C0F7C
.long 0xD3B24014, 0x18030114
.long 0xBF8C0F7B
.long 0xD3B24014, 0x18031114
	;; [unrolled: 2-line block ×13, first 2 shown]
.long 0xBF8200F6
.long 0xBF8C0F7B
.long 0xD3B24014, 0x18030114
.long 0xBF8C0F7A
.long 0xD3B24014, 0x18031114
.long 0xBF8C0F79
.long 0xD3B24014, 0x18032114
.long 0xBF8C0F78
.long 0xD3B24014, 0x18033114
.long 0xBF8C0F77
.long 0xD3B24014, 0x18034114
.long 0xBF8C0F76
.long 0xD3B24014, 0x18035114
.long 0xBF8C0F75
.long 0xD3B24014, 0x18036114
.long 0xBF8C0F74
.long 0xD3B24014, 0x18037114
.long 0xBF8C0F73
.long 0xD3B24014, 0x18038114
.long 0xBF8C0F72
.long 0xD3B24014, 0x18039114
.long 0xBF8C0F71
.long 0xD3B24014, 0x1803A114
.long 0xBF8C0F70
.long 0xD3B24014, 0x1803B114
.long 0xBF8200D1
.long 0xBF8C0F7A
.long 0xD3B24014, 0x18030114
.long 0xBF8C0F79
.long 0xD3B24014, 0x18031114
	;; [unrolled: 2-line block ×11, first 2 shown]
.long 0xBF8200AF
.long 0xBF8C0F79
.long 0xD3B24014, 0x18030114
.long 0xBF8C0F78
.long 0xD3B24014, 0x18031114
	;; [unrolled: 2-line block ×10, first 2 shown]
.long 0xBF820090
.long 0xBF8C0F78
.long 0xD3B24014, 0x18030114
.long 0xBF8C0F77
.long 0xD3B24014, 0x18031114
	;; [unrolled: 2-line block ×9, first 2 shown]
.long 0xBF820074
.long 0xBF8C0F77
.long 0xD3B24014, 0x18030114
.long 0xBF8C0F76
.long 0xD3B24014, 0x18031114
	;; [unrolled: 2-line block ×8, first 2 shown]
.long 0xBF82005B
.long 0xBF8C0F76
.long 0xD3B24014, 0x18030114
.long 0xBF8C0F75
.long 0xD3B24014, 0x18031114
	;; [unrolled: 2-line block ×7, first 2 shown]
.long 0xBF820045
.long 0xBF8C0F75
.long 0xD3B24014, 0x18030114
.long 0xBF8C0F74
.long 0xD3B24014, 0x18031114
	;; [unrolled: 2-line block ×6, first 2 shown]
.long 0xBF820032
.long 0xBF8C0F74
.long 0xD3B24014, 0x18030114
.long 0xBF8C0F73
.long 0xD3B24014, 0x18031114
	;; [unrolled: 2-line block ×5, first 2 shown]
.long 0xBF820022
.long 0xBF8C0F73
.long 0xD3B24014, 0x18030114
.long 0xBF8C0F72
.long 0xD3B24014, 0x18031114
	;; [unrolled: 2-line block ×4, first 2 shown]
.long 0xBF820015
.long 0xBF8C0F72
.long 0xD3B24014, 0x18030114
.long 0xBF8C0F71
.long 0xD3B24014, 0x18031114
	;; [unrolled: 2-line block ×3, first 2 shown]
.long 0xBF82000B
.long 0xBF8C0F71
.long 0xD3B24014, 0x18030114
.long 0xBF8C0F70
.long 0xD3B24014, 0x18031114
.long 0xBF820004
.long 0xBF8C0F70
.long 0xD3B24014, 0x18030114
.long 0xBF820000
.long 0x7E1602FF, 0x80000000
.long 0xBEDC0016
.long 0xBEDD0017
	;; [unrolled: 1-line block ×9, first 2 shown]
.long 0xE054D000, 0x80171606
.long 0xBE850032
.long 0x81858105
.long 0x805C565C
.long 0x825D575D
.long 0xBF008005
.long 0xBF850281
.long 0xE054D000, 0x80178006
.long 0x81858105
.long 0x805C565C
.long 0x825D575D
.long 0xBF008005
.long 0xBF850276
.long 0xE054D000, 0x80178806
.long 0x81858105
.long 0x805C565C
.long 0x825D575D
.long 0xBF008005
.long 0xBF850268
	;; [unrolled: 6-line block ×14, first 2 shown]
.long 0xE054D000, 0x8017F006
.long 0xBF8C0F7E
.long 0xD3B24016, 0x18030116
.long 0x81858105
.long 0xBF05CE05
.long 0xBF850217
.long 0x805C565C
.long 0x825D575D
.long 0xD0C60058, 0x00000A80
.long 0xD1000018, 0x01621706
.long 0xE054D000, 0x80178018
.long 0xBF8C0F7E
.long 0xD3B24016, 0x18031116
.long 0x81858105
.long 0xBF05CE05
.long 0xBF850209
.long 0x805C565C
.long 0x825D575D
.long 0xD0C60058, 0x00000A80
.long 0xD1000018, 0x01621706
	;; [unrolled: 10-line block ×15, first 2 shown]
.long 0xE054D000, 0x8017F018
.long 0xBF02CE05
.long 0xBF85FF2C
	;; [unrolled: 1-line block ×3, first 2 shown]
.long 0xD3B24016, 0x18030116
.long 0xBF8C0F7C
.long 0xD3B24016, 0x18031116
.long 0xBF8C0F7B
	;; [unrolled: 2-line block ×14, first 2 shown]
.long 0xBF8C0F7C
.long 0xD3B24016, 0x18030116
.long 0xBF8C0F7B
.long 0xD3B24016, 0x18031116
	;; [unrolled: 2-line block ×13, first 2 shown]
.long 0xBF8200F6
.long 0xBF8C0F7B
.long 0xD3B24016, 0x18030116
.long 0xBF8C0F7A
.long 0xD3B24016, 0x18031116
	;; [unrolled: 2-line block ×12, first 2 shown]
.long 0xBF8200D1
.long 0xBF8C0F7A
.long 0xD3B24016, 0x18030116
.long 0xBF8C0F79
.long 0xD3B24016, 0x18031116
	;; [unrolled: 2-line block ×11, first 2 shown]
.long 0xBF8200AF
.long 0xBF8C0F79
.long 0xD3B24016, 0x18030116
.long 0xBF8C0F78
.long 0xD3B24016, 0x18031116
	;; [unrolled: 2-line block ×10, first 2 shown]
.long 0xBF820090
.long 0xBF8C0F78
.long 0xD3B24016, 0x18030116
.long 0xBF8C0F77
.long 0xD3B24016, 0x18031116
	;; [unrolled: 2-line block ×9, first 2 shown]
.long 0xBF820074
.long 0xBF8C0F77
.long 0xD3B24016, 0x18030116
.long 0xBF8C0F76
.long 0xD3B24016, 0x18031116
	;; [unrolled: 2-line block ×8, first 2 shown]
.long 0xBF82005B
.long 0xBF8C0F76
.long 0xD3B24016, 0x18030116
.long 0xBF8C0F75
.long 0xD3B24016, 0x18031116
	;; [unrolled: 2-line block ×7, first 2 shown]
.long 0xBF820045
.long 0xBF8C0F75
.long 0xD3B24016, 0x18030116
.long 0xBF8C0F74
.long 0xD3B24016, 0x18031116
	;; [unrolled: 2-line block ×6, first 2 shown]
.long 0xBF820032
.long 0xBF8C0F74
.long 0xD3B24016, 0x18030116
.long 0xBF8C0F73
.long 0xD3B24016, 0x18031116
	;; [unrolled: 2-line block ×5, first 2 shown]
.long 0xBF820022
.long 0xBF8C0F73
.long 0xD3B24016, 0x18030116
.long 0xBF8C0F72
.long 0xD3B24016, 0x18031116
.long 0xBF8C0F71
.long 0xD3B24016, 0x18032116
.long 0xBF8C0F70
.long 0xD3B24016, 0x18033116
.long 0xBF820015
.long 0xBF8C0F72
.long 0xD3B24016, 0x18030116
.long 0xBF8C0F71
.long 0xD3B24016, 0x18031116
.long 0xBF8C0F70
.long 0xD3B24016, 0x18032116
.long 0xBF82000B
.long 0xBF8C0F71
.long 0xD3B24016, 0x18030116
.long 0xBF8C0F70
.long 0xD3B24016, 0x18031116
.long 0xBF820004
.long 0xBF8C0F70
.long 0xD3B24016, 0x18030116
.long 0xBF820000
.long 0x0A202030
	;; [unrolled: 1-line block ×9, first 2 shown]
.long 0xD0CC0038, 0x0001004A
.long 0xD100000E, 0x00E21CF2
	;; [unrolled: 1-line block ×7, first 2 shown]
.long 0x7E201510
.long 0x7E221511
.long 0xD2A00010, 0x00022310
.long 0xE070D000, 0x80141007
.long 0xBF800000
.long 0xD0CC0038, 0x0001004A
.long 0xD100000E, 0x00E21CF2
.long 0xD100000F, 0x00E21EF2
.long 0xD3B14012, 0x1802250E
.long 0xD3B24012, 0x1802250C
.long 0x262424FF, 0x7FFFFFFF
.long 0x262626FF, 0x7FFFFFFF
.long 0x7E241512
.long 0x7E261513
.long 0xD2A00012, 0x00022712
.long 0x8E428128
.long 0x80504250
.long 0x82518051
.long 0xE070D000, 0x80141207
.long 0xBF800000
.long 0xD0CC0038, 0x0001004A
.long 0xD100000E, 0x00E21CF2
.long 0xD100000F, 0x00E21EF2
.long 0xD3B14014, 0x1802290E
.long 0xD3B24014, 0x1802290C
.long 0x262828FF, 0x7FFFFFFF
.long 0x262A2AFF, 0x7FFFFFFF
.long 0x7E281514
.long 0x7E2A1515
.long 0xD2A00014, 0x00022B14
.long 0x8E428128
.long 0x80504250
.long 0x82518051
	;; [unrolled: 15-line block ×3, first 2 shown]
.long 0xE070D000, 0x80141607
.long 0xBF800000
.long 0xBF800000
	;; [unrolled: 1-line block ×3, first 2 shown]
.long 0x815684FF, 0x00013ACC
.long 0x80545654
.long 0x82558055
	;; [unrolled: 1-line block ×3, first 2 shown]
.long 0x924202FF, 0x00000080
.long 0xD1350009, 0x00008500
.long 0x24121282
.long 0xBF8CC07F
	;; [unrolled: 1-line block ×3, first 2 shown]
.long 0xD8EC0000, 0x0C000009
.long 0x24140082
.long 0xE0541000, 0x80120E0A
.long 0xD1FE0006, 0x020A0103
	;; [unrolled: 1-line block ×11, first 2 shown]
.long 0xBF800001
.long 0xE074D000, 0x80031006
.long 0x8E428228
.long 0x800C420C
.long 0x820D800D
.long 0xE074D000, 0x80031206
.long 0x8E428228
.long 0x800C420C
.long 0x820D800D
.long 0xE074D000, 0x80031406
.long 0x8E428228
.long 0x800C420C
.long 0x820D800D
.long 0xE074D000, 0x80031606
.long 0xBF800000
.long 0x92541415
.long 0x92330454
.long 0x92411403
	;; [unrolled: 1-line block ×14, first 2 shown]
.long 0xC2330CCC, 0x00000000
.long 0x965B811C
.long 0x925A811C
	;; [unrolled: 1-line block ×15, first 2 shown]
.long 0x7E1602FF, 0x80000000
.long 0xBEDC0016
.long 0xBEDD0017
	;; [unrolled: 1-line block ×7, first 2 shown]
.long 0xE054D000, 0x80171006
.long 0xBE850032
.long 0x81858105
	;; [unrolled: 1-line block ×6, first 2 shown]
.long 0xE054D000, 0x80178006
.long 0x81858105
.long 0x805C565C
.long 0x825D575D
.long 0xBF008005
.long 0xBF850276
.long 0xE054D000, 0x80178806
.long 0x81858105
.long 0x805C565C
.long 0x825D575D
.long 0xBF008005
.long 0xBF850268
	;; [unrolled: 6-line block ×14, first 2 shown]
.long 0xE054D000, 0x8017F006
.long 0xBF8C0F7E
.long 0xD3B24010, 0x18030110
.long 0x81858105
.long 0xBF05CE05
.long 0xBF850217
.long 0x805C565C
.long 0x825D575D
.long 0xD0C60058, 0x00000A80
.long 0xD1000018, 0x01621706
.long 0xE054D000, 0x80178018
.long 0xBF8C0F7E
.long 0xD3B24010, 0x18031110
.long 0x81858105
.long 0xBF05CE05
.long 0xBF850209
.long 0x805C565C
.long 0x825D575D
.long 0xD0C60058, 0x00000A80
.long 0xD1000018, 0x01621706
	;; [unrolled: 10-line block ×15, first 2 shown]
.long 0xE054D000, 0x8017F018
.long 0xBF02CE05
.long 0xBF85FF2C
	;; [unrolled: 1-line block ×3, first 2 shown]
.long 0xD3B24010, 0x18030110
.long 0xBF8C0F7C
.long 0xD3B24010, 0x18031110
.long 0xBF8C0F7B
	;; [unrolled: 2-line block ×14, first 2 shown]
.long 0xBF8C0F7C
.long 0xD3B24010, 0x18030110
.long 0xBF8C0F7B
.long 0xD3B24010, 0x18031110
	;; [unrolled: 2-line block ×13, first 2 shown]
.long 0xBF8200F6
.long 0xBF8C0F7B
.long 0xD3B24010, 0x18030110
.long 0xBF8C0F7A
.long 0xD3B24010, 0x18031110
	;; [unrolled: 2-line block ×12, first 2 shown]
.long 0xBF8200D1
.long 0xBF8C0F7A
.long 0xD3B24010, 0x18030110
.long 0xBF8C0F79
.long 0xD3B24010, 0x18031110
	;; [unrolled: 2-line block ×11, first 2 shown]
.long 0xBF8200AF
.long 0xBF8C0F79
.long 0xD3B24010, 0x18030110
.long 0xBF8C0F78
.long 0xD3B24010, 0x18031110
	;; [unrolled: 2-line block ×10, first 2 shown]
.long 0xBF820090
.long 0xBF8C0F78
.long 0xD3B24010, 0x18030110
.long 0xBF8C0F77
.long 0xD3B24010, 0x18031110
	;; [unrolled: 2-line block ×9, first 2 shown]
.long 0xBF820074
.long 0xBF8C0F77
.long 0xD3B24010, 0x18030110
.long 0xBF8C0F76
.long 0xD3B24010, 0x18031110
	;; [unrolled: 2-line block ×8, first 2 shown]
.long 0xBF82005B
.long 0xBF8C0F76
.long 0xD3B24010, 0x18030110
.long 0xBF8C0F75
.long 0xD3B24010, 0x18031110
	;; [unrolled: 2-line block ×7, first 2 shown]
.long 0xBF820045
.long 0xBF8C0F75
.long 0xD3B24010, 0x18030110
.long 0xBF8C0F74
.long 0xD3B24010, 0x18031110
	;; [unrolled: 2-line block ×6, first 2 shown]
.long 0xBF820032
.long 0xBF8C0F74
.long 0xD3B24010, 0x18030110
.long 0xBF8C0F73
.long 0xD3B24010, 0x18031110
	;; [unrolled: 2-line block ×5, first 2 shown]
.long 0xBF820022
.long 0xBF8C0F73
.long 0xD3B24010, 0x18030110
.long 0xBF8C0F72
.long 0xD3B24010, 0x18031110
	;; [unrolled: 2-line block ×4, first 2 shown]
.long 0xBF820015
.long 0xBF8C0F72
.long 0xD3B24010, 0x18030110
.long 0xBF8C0F71
.long 0xD3B24010, 0x18031110
	;; [unrolled: 2-line block ×3, first 2 shown]
.long 0xBF82000B
.long 0xBF8C0F71
.long 0xD3B24010, 0x18030110
.long 0xBF8C0F70
.long 0xD3B24010, 0x18031110
.long 0xBF820004
.long 0xBF8C0F70
.long 0xD3B24010, 0x18030110
.long 0xBF820000
.long 0x7E1602FF, 0x80000000
.long 0xBEDC0016
.long 0xBEDD0017
	;; [unrolled: 1-line block ×9, first 2 shown]
.long 0xE054D000, 0x80171206
.long 0xBE850032
.long 0x81858105
	;; [unrolled: 1-line block ×6, first 2 shown]
.long 0xE054D000, 0x80178006
.long 0x81858105
.long 0x805C565C
.long 0x825D575D
.long 0xBF008005
.long 0xBF850276
.long 0xE054D000, 0x80178806
.long 0x81858105
.long 0x805C565C
.long 0x825D575D
.long 0xBF008005
.long 0xBF850268
	;; [unrolled: 6-line block ×14, first 2 shown]
.long 0xE054D000, 0x8017F006
.long 0xBF8C0F7E
.long 0xD3B24012, 0x18030112
.long 0x81858105
.long 0xBF05CE05
.long 0xBF850217
.long 0x805C565C
.long 0x825D575D
.long 0xD0C60058, 0x00000A80
.long 0xD1000018, 0x01621706
.long 0xE054D000, 0x80178018
.long 0xBF8C0F7E
.long 0xD3B24012, 0x18031112
.long 0x81858105
.long 0xBF05CE05
.long 0xBF850209
.long 0x805C565C
.long 0x825D575D
.long 0xD0C60058, 0x00000A80
.long 0xD1000018, 0x01621706
	;; [unrolled: 10-line block ×15, first 2 shown]
.long 0xE054D000, 0x8017F018
.long 0xBF02CE05
.long 0xBF85FF2C
	;; [unrolled: 1-line block ×3, first 2 shown]
.long 0xD3B24012, 0x18030112
.long 0xBF8C0F7C
.long 0xD3B24012, 0x18031112
.long 0xBF8C0F7B
	;; [unrolled: 2-line block ×14, first 2 shown]
.long 0xBF8C0F7C
.long 0xD3B24012, 0x18030112
.long 0xBF8C0F7B
.long 0xD3B24012, 0x18031112
	;; [unrolled: 2-line block ×13, first 2 shown]
.long 0xBF8200F6
.long 0xBF8C0F7B
.long 0xD3B24012, 0x18030112
.long 0xBF8C0F7A
.long 0xD3B24012, 0x18031112
	;; [unrolled: 2-line block ×12, first 2 shown]
.long 0xBF8200D1
.long 0xBF8C0F7A
.long 0xD3B24012, 0x18030112
.long 0xBF8C0F79
.long 0xD3B24012, 0x18031112
	;; [unrolled: 2-line block ×11, first 2 shown]
.long 0xBF8200AF
.long 0xBF8C0F79
.long 0xD3B24012, 0x18030112
.long 0xBF8C0F78
.long 0xD3B24012, 0x18031112
	;; [unrolled: 2-line block ×10, first 2 shown]
.long 0xBF820090
.long 0xBF8C0F78
.long 0xD3B24012, 0x18030112
.long 0xBF8C0F77
.long 0xD3B24012, 0x18031112
	;; [unrolled: 2-line block ×9, first 2 shown]
.long 0xBF820074
.long 0xBF8C0F77
.long 0xD3B24012, 0x18030112
.long 0xBF8C0F76
.long 0xD3B24012, 0x18031112
.long 0xBF8C0F75
.long 0xD3B24012, 0x18032112
.long 0xBF8C0F74
.long 0xD3B24012, 0x18033112
.long 0xBF8C0F73
.long 0xD3B24012, 0x18034112
.long 0xBF8C0F72
.long 0xD3B24012, 0x18035112
.long 0xBF8C0F71
.long 0xD3B24012, 0x18036112
.long 0xBF8C0F70
.long 0xD3B24012, 0x18037112
.long 0xBF82005B
.long 0xBF8C0F76
.long 0xD3B24012, 0x18030112
.long 0xBF8C0F75
.long 0xD3B24012, 0x18031112
	;; [unrolled: 2-line block ×7, first 2 shown]
.long 0xBF820045
.long 0xBF8C0F75
.long 0xD3B24012, 0x18030112
.long 0xBF8C0F74
.long 0xD3B24012, 0x18031112
	;; [unrolled: 2-line block ×6, first 2 shown]
.long 0xBF820032
.long 0xBF8C0F74
.long 0xD3B24012, 0x18030112
.long 0xBF8C0F73
.long 0xD3B24012, 0x18031112
	;; [unrolled: 2-line block ×5, first 2 shown]
.long 0xBF820022
.long 0xBF8C0F73
.long 0xD3B24012, 0x18030112
.long 0xBF8C0F72
.long 0xD3B24012, 0x18031112
.long 0xBF8C0F71
.long 0xD3B24012, 0x18032112
.long 0xBF8C0F70
.long 0xD3B24012, 0x18033112
.long 0xBF820015
.long 0xBF8C0F72
.long 0xD3B24012, 0x18030112
.long 0xBF8C0F71
.long 0xD3B24012, 0x18031112
	;; [unrolled: 2-line block ×3, first 2 shown]
.long 0xBF82000B
.long 0xBF8C0F71
.long 0xD3B24012, 0x18030112
.long 0xBF8C0F70
.long 0xD3B24012, 0x18031112
.long 0xBF820004
.long 0xBF8C0F70
.long 0xD3B24012, 0x18030112
.long 0xBF820000
.long 0x7E1602FF, 0x80000000
.long 0xBEDC0016
.long 0xBEDD0017
	;; [unrolled: 1-line block ×9, first 2 shown]
.long 0xE054D000, 0x80171406
.long 0xBE850032
.long 0x81858105
	;; [unrolled: 1-line block ×6, first 2 shown]
.long 0xE054D000, 0x80178006
.long 0x81858105
.long 0x805C565C
.long 0x825D575D
.long 0xBF008005
.long 0xBF850276
.long 0xE054D000, 0x80178806
.long 0x81858105
.long 0x805C565C
.long 0x825D575D
.long 0xBF008005
.long 0xBF850268
	;; [unrolled: 6-line block ×14, first 2 shown]
.long 0xE054D000, 0x8017F006
.long 0xBF8C0F7E
.long 0xD3B24014, 0x18030114
.long 0x81858105
.long 0xBF05CE05
.long 0xBF850217
.long 0x805C565C
.long 0x825D575D
.long 0xD0C60058, 0x00000A80
.long 0xD1000018, 0x01621706
.long 0xE054D000, 0x80178018
.long 0xBF8C0F7E
.long 0xD3B24014, 0x18031114
.long 0x81858105
.long 0xBF05CE05
.long 0xBF850209
.long 0x805C565C
.long 0x825D575D
.long 0xD0C60058, 0x00000A80
.long 0xD1000018, 0x01621706
	;; [unrolled: 10-line block ×15, first 2 shown]
.long 0xE054D000, 0x8017F018
.long 0xBF02CE05
.long 0xBF85FF2C
	;; [unrolled: 1-line block ×3, first 2 shown]
.long 0xD3B24014, 0x18030114
.long 0xBF8C0F7C
.long 0xD3B24014, 0x18031114
.long 0xBF8C0F7B
	;; [unrolled: 2-line block ×14, first 2 shown]
.long 0xBF8C0F7C
.long 0xD3B24014, 0x18030114
.long 0xBF8C0F7B
.long 0xD3B24014, 0x18031114
	;; [unrolled: 2-line block ×13, first 2 shown]
.long 0xBF8200F6
.long 0xBF8C0F7B
.long 0xD3B24014, 0x18030114
.long 0xBF8C0F7A
.long 0xD3B24014, 0x18031114
.long 0xBF8C0F79
.long 0xD3B24014, 0x18032114
.long 0xBF8C0F78
.long 0xD3B24014, 0x18033114
.long 0xBF8C0F77
.long 0xD3B24014, 0x18034114
.long 0xBF8C0F76
.long 0xD3B24014, 0x18035114
.long 0xBF8C0F75
.long 0xD3B24014, 0x18036114
.long 0xBF8C0F74
.long 0xD3B24014, 0x18037114
.long 0xBF8C0F73
.long 0xD3B24014, 0x18038114
.long 0xBF8C0F72
.long 0xD3B24014, 0x18039114
.long 0xBF8C0F71
.long 0xD3B24014, 0x1803A114
.long 0xBF8C0F70
.long 0xD3B24014, 0x1803B114
.long 0xBF8200D1
.long 0xBF8C0F7A
.long 0xD3B24014, 0x18030114
.long 0xBF8C0F79
.long 0xD3B24014, 0x18031114
	;; [unrolled: 2-line block ×11, first 2 shown]
.long 0xBF8200AF
.long 0xBF8C0F79
.long 0xD3B24014, 0x18030114
.long 0xBF8C0F78
.long 0xD3B24014, 0x18031114
	;; [unrolled: 2-line block ×10, first 2 shown]
.long 0xBF820090
.long 0xBF8C0F78
.long 0xD3B24014, 0x18030114
.long 0xBF8C0F77
.long 0xD3B24014, 0x18031114
.long 0xBF8C0F76
.long 0xD3B24014, 0x18032114
.long 0xBF8C0F75
.long 0xD3B24014, 0x18033114
.long 0xBF8C0F74
.long 0xD3B24014, 0x18034114
.long 0xBF8C0F73
.long 0xD3B24014, 0x18035114
.long 0xBF8C0F72
.long 0xD3B24014, 0x18036114
.long 0xBF8C0F71
.long 0xD3B24014, 0x18037114
.long 0xBF8C0F70
.long 0xD3B24014, 0x18038114
.long 0xBF820074
.long 0xBF8C0F77
.long 0xD3B24014, 0x18030114
.long 0xBF8C0F76
.long 0xD3B24014, 0x18031114
	;; [unrolled: 2-line block ×8, first 2 shown]
.long 0xBF82005B
.long 0xBF8C0F76
.long 0xD3B24014, 0x18030114
.long 0xBF8C0F75
.long 0xD3B24014, 0x18031114
	;; [unrolled: 2-line block ×7, first 2 shown]
.long 0xBF820045
.long 0xBF8C0F75
.long 0xD3B24014, 0x18030114
.long 0xBF8C0F74
.long 0xD3B24014, 0x18031114
	;; [unrolled: 2-line block ×6, first 2 shown]
.long 0xBF820032
.long 0xBF8C0F74
.long 0xD3B24014, 0x18030114
.long 0xBF8C0F73
.long 0xD3B24014, 0x18031114
	;; [unrolled: 2-line block ×5, first 2 shown]
.long 0xBF820022
.long 0xBF8C0F73
.long 0xD3B24014, 0x18030114
.long 0xBF8C0F72
.long 0xD3B24014, 0x18031114
	;; [unrolled: 2-line block ×4, first 2 shown]
.long 0xBF820015
.long 0xBF8C0F72
.long 0xD3B24014, 0x18030114
.long 0xBF8C0F71
.long 0xD3B24014, 0x18031114
	;; [unrolled: 2-line block ×3, first 2 shown]
.long 0xBF82000B
.long 0xBF8C0F71
.long 0xD3B24014, 0x18030114
.long 0xBF8C0F70
.long 0xD3B24014, 0x18031114
.long 0xBF820004
.long 0xBF8C0F70
.long 0xD3B24014, 0x18030114
.long 0xBF820000
.long 0x7E1602FF, 0x80000000
.long 0xBEDC0016
.long 0xBEDD0017
.long 0xBEDE000E
.long 0xBEDF000F
.long 0x8E588228
.long 0x805C585C
.long 0x825D805D
.long 0x80165816
.long 0x82178017
.long 0xE054D000, 0x80171606
.long 0xBE850032
.long 0x81858105
.long 0x805C565C
.long 0x825D575D
.long 0xBF008005
.long 0xBF850281
.long 0xE054D000, 0x80178006
.long 0x81858105
.long 0x805C565C
.long 0x825D575D
.long 0xBF008005
.long 0xBF850276
.long 0xE054D000, 0x80178806
.long 0x81858105
.long 0x805C565C
.long 0x825D575D
.long 0xBF008005
.long 0xBF850268
	;; [unrolled: 6-line block ×14, first 2 shown]
.long 0xE054D000, 0x8017F006
.long 0xBF8C0F7E
.long 0xD3B24016, 0x18030116
.long 0x81858105
.long 0xBF05CE05
.long 0xBF850217
.long 0x805C565C
.long 0x825D575D
.long 0xD0C60058, 0x00000A80
.long 0xD1000018, 0x01621706
.long 0xE054D000, 0x80178018
.long 0xBF8C0F7E
.long 0xD3B24016, 0x18031116
.long 0x81858105
.long 0xBF05CE05
.long 0xBF850209
.long 0x805C565C
.long 0x825D575D
.long 0xD0C60058, 0x00000A80
.long 0xD1000018, 0x01621706
	;; [unrolled: 10-line block ×15, first 2 shown]
.long 0xE054D000, 0x8017F018
.long 0xBF02CE05
.long 0xBF85FF2C
	;; [unrolled: 1-line block ×3, first 2 shown]
.long 0xD3B24016, 0x18030116
.long 0xBF8C0F7C
.long 0xD3B24016, 0x18031116
.long 0xBF8C0F7B
	;; [unrolled: 2-line block ×14, first 2 shown]
.long 0xBF8C0F7C
.long 0xD3B24016, 0x18030116
.long 0xBF8C0F7B
.long 0xD3B24016, 0x18031116
	;; [unrolled: 2-line block ×13, first 2 shown]
.long 0xBF8200F6
.long 0xBF8C0F7B
.long 0xD3B24016, 0x18030116
.long 0xBF8C0F7A
.long 0xD3B24016, 0x18031116
	;; [unrolled: 2-line block ×12, first 2 shown]
.long 0xBF8200D1
.long 0xBF8C0F7A
.long 0xD3B24016, 0x18030116
.long 0xBF8C0F79
.long 0xD3B24016, 0x18031116
.long 0xBF8C0F78
.long 0xD3B24016, 0x18032116
.long 0xBF8C0F77
.long 0xD3B24016, 0x18033116
.long 0xBF8C0F76
.long 0xD3B24016, 0x18034116
.long 0xBF8C0F75
.long 0xD3B24016, 0x18035116
.long 0xBF8C0F74
.long 0xD3B24016, 0x18036116
.long 0xBF8C0F73
.long 0xD3B24016, 0x18037116
.long 0xBF8C0F72
.long 0xD3B24016, 0x18038116
.long 0xBF8C0F71
.long 0xD3B24016, 0x18039116
.long 0xBF8C0F70
.long 0xD3B24016, 0x1803A116
.long 0xBF8200AF
.long 0xBF8C0F79
.long 0xD3B24016, 0x18030116
.long 0xBF8C0F78
.long 0xD3B24016, 0x18031116
	;; [unrolled: 2-line block ×10, first 2 shown]
.long 0xBF820090
.long 0xBF8C0F78
.long 0xD3B24016, 0x18030116
.long 0xBF8C0F77
.long 0xD3B24016, 0x18031116
	;; [unrolled: 2-line block ×9, first 2 shown]
.long 0xBF820074
.long 0xBF8C0F77
.long 0xD3B24016, 0x18030116
.long 0xBF8C0F76
.long 0xD3B24016, 0x18031116
	;; [unrolled: 2-line block ×8, first 2 shown]
.long 0xBF82005B
.long 0xBF8C0F76
.long 0xD3B24016, 0x18030116
.long 0xBF8C0F75
.long 0xD3B24016, 0x18031116
	;; [unrolled: 2-line block ×7, first 2 shown]
.long 0xBF820045
.long 0xBF8C0F75
.long 0xD3B24016, 0x18030116
.long 0xBF8C0F74
.long 0xD3B24016, 0x18031116
	;; [unrolled: 2-line block ×6, first 2 shown]
.long 0xBF820032
.long 0xBF8C0F74
.long 0xD3B24016, 0x18030116
.long 0xBF8C0F73
.long 0xD3B24016, 0x18031116
	;; [unrolled: 2-line block ×5, first 2 shown]
.long 0xBF820022
.long 0xBF8C0F73
.long 0xD3B24016, 0x18030116
.long 0xBF8C0F72
.long 0xD3B24016, 0x18031116
	;; [unrolled: 2-line block ×4, first 2 shown]
.long 0xBF820015
.long 0xBF8C0F72
.long 0xD3B24016, 0x18030116
.long 0xBF8C0F71
.long 0xD3B24016, 0x18031116
	;; [unrolled: 2-line block ×3, first 2 shown]
.long 0xBF82000B
.long 0xBF8C0F71
.long 0xD3B24016, 0x18030116
.long 0xBF8C0F70
.long 0xD3B24016, 0x18031116
.long 0xBF820004
.long 0xBF8C0F70
.long 0xD3B24016, 0x18030116
.long 0xBF820000
.long 0x0A202030
	;; [unrolled: 1-line block ×9, first 2 shown]
.long 0xD0CC0038, 0x0001004A
.long 0xD100000E, 0x00E21CF2
	;; [unrolled: 1-line block ×6, first 2 shown]
.long 0x1420203F
.long 0x00202080
.long 0xD044006A, 0x00007D11
.long 0x1422223F
.long 0x00222280
	;; [unrolled: 1-line block ×4, first 2 shown]
.long 0xD2A00010, 0x00022310
.long 0xE070D000, 0x80141007
.long 0xBF800000
.long 0xD0CC0038, 0x0001004A
.long 0xD100000E, 0x00E21CF2
.long 0xD100000F, 0x00E21EF2
.long 0xD3B14012, 0x1802250E
.long 0xD3B24012, 0x1802250C
.long 0xD044006A, 0x00007D12
.long 0x1424243F
.long 0x00242480
.long 0xD044006A, 0x00007D13
.long 0x1426263F
.long 0x00262680
.long 0x7E241512
.long 0x7E261513
.long 0xD2A00012, 0x00022712
.long 0x8E428128
.long 0x80504250
.long 0x82518051
.long 0xE070D000, 0x80141207
.long 0xBF800000
.long 0xD0CC0038, 0x0001004A
.long 0xD100000E, 0x00E21CF2
.long 0xD100000F, 0x00E21EF2
.long 0xD3B14014, 0x1802290E
.long 0xD3B24014, 0x1802290C
.long 0xD044006A, 0x00007D14
.long 0x1428283F
.long 0x00282880
.long 0xD044006A, 0x00007D15
.long 0x142A2A3F
.long 0x002A2A80
.long 0x7E281514
.long 0x7E2A1515
.long 0xD2A00014, 0x00022B14
.long 0x8E428128
.long 0x80504250
.long 0x82518051
	;; [unrolled: 19-line block ×3, first 2 shown]
.long 0xE070D000, 0x80141607
.long 0xBF800000
.long 0xBF800000
	;; [unrolled: 1-line block ×3, first 2 shown]
.long 0x924202FF, 0x00000080
.long 0xD1350009, 0x00008500
.long 0x24121282
.long 0xBF8CC07F
	;; [unrolled: 1-line block ×3, first 2 shown]
.long 0xD8EC0000, 0x0C000009
.long 0x24140082
.long 0xE0541000, 0x80120E0A
.long 0xD1FE0006, 0x020A0103
	;; [unrolled: 1-line block ×11, first 2 shown]
.long 0xBF800001
.long 0xE074D000, 0x80031006
.long 0x8E428228
.long 0x800C420C
.long 0x820D800D
.long 0xE074D000, 0x80031206
.long 0x8E428228
.long 0x800C420C
	;; [unrolled: 4-line block ×4, first 2 shown]
.long 0x92330454
.long 0x92411403
	;; [unrolled: 1-line block ×14, first 2 shown]
.long 0xC2330CCC, 0x00000000
.long 0x965B811C
.long 0x925A811C
	;; [unrolled: 1-line block ×15, first 2 shown]
.long 0x7E1602FF, 0x80000000
.long 0xBEDC0016
.long 0xBEDD0017
	;; [unrolled: 1-line block ×7, first 2 shown]
.long 0xE054D000, 0x80171006
.long 0xBE850032
.long 0x81858105
	;; [unrolled: 1-line block ×6, first 2 shown]
.long 0xE054D000, 0x80178006
.long 0x81858105
.long 0x805C565C
.long 0x825D575D
.long 0xBF008005
.long 0xBF850276
.long 0xE054D000, 0x80178806
.long 0x81858105
.long 0x805C565C
.long 0x825D575D
.long 0xBF008005
.long 0xBF850268
	;; [unrolled: 6-line block ×14, first 2 shown]
.long 0xE054D000, 0x8017F006
.long 0xBF8C0F7E
.long 0xD3B24010, 0x18030110
.long 0x81858105
.long 0xBF05CE05
.long 0xBF850217
.long 0x805C565C
.long 0x825D575D
.long 0xD0C60058, 0x00000A80
.long 0xD1000018, 0x01621706
.long 0xE054D000, 0x80178018
.long 0xBF8C0F7E
.long 0xD3B24010, 0x18031110
.long 0x81858105
.long 0xBF05CE05
.long 0xBF850209
.long 0x805C565C
.long 0x825D575D
.long 0xD0C60058, 0x00000A80
.long 0xD1000018, 0x01621706
	;; [unrolled: 10-line block ×15, first 2 shown]
.long 0xE054D000, 0x8017F018
.long 0xBF02CE05
.long 0xBF85FF2C
	;; [unrolled: 1-line block ×3, first 2 shown]
.long 0xD3B24010, 0x18030110
.long 0xBF8C0F7C
.long 0xD3B24010, 0x18031110
.long 0xBF8C0F7B
	;; [unrolled: 2-line block ×14, first 2 shown]
.long 0xBF8C0F7C
.long 0xD3B24010, 0x18030110
.long 0xBF8C0F7B
.long 0xD3B24010, 0x18031110
	;; [unrolled: 2-line block ×13, first 2 shown]
.long 0xBF8200F6
.long 0xBF8C0F7B
.long 0xD3B24010, 0x18030110
.long 0xBF8C0F7A
.long 0xD3B24010, 0x18031110
	;; [unrolled: 2-line block ×12, first 2 shown]
.long 0xBF8200D1
.long 0xBF8C0F7A
.long 0xD3B24010, 0x18030110
.long 0xBF8C0F79
.long 0xD3B24010, 0x18031110
	;; [unrolled: 2-line block ×11, first 2 shown]
.long 0xBF8200AF
.long 0xBF8C0F79
.long 0xD3B24010, 0x18030110
.long 0xBF8C0F78
.long 0xD3B24010, 0x18031110
	;; [unrolled: 2-line block ×10, first 2 shown]
.long 0xBF820090
.long 0xBF8C0F78
.long 0xD3B24010, 0x18030110
.long 0xBF8C0F77
.long 0xD3B24010, 0x18031110
	;; [unrolled: 2-line block ×9, first 2 shown]
.long 0xBF820074
.long 0xBF8C0F77
.long 0xD3B24010, 0x18030110
.long 0xBF8C0F76
.long 0xD3B24010, 0x18031110
	;; [unrolled: 2-line block ×8, first 2 shown]
.long 0xBF82005B
.long 0xBF8C0F76
.long 0xD3B24010, 0x18030110
.long 0xBF8C0F75
.long 0xD3B24010, 0x18031110
.long 0xBF8C0F74
.long 0xD3B24010, 0x18032110
.long 0xBF8C0F73
.long 0xD3B24010, 0x18033110
.long 0xBF8C0F72
.long 0xD3B24010, 0x18034110
.long 0xBF8C0F71
.long 0xD3B24010, 0x18035110
.long 0xBF8C0F70
.long 0xD3B24010, 0x18036110
.long 0xBF820045
.long 0xBF8C0F75
.long 0xD3B24010, 0x18030110
.long 0xBF8C0F74
.long 0xD3B24010, 0x18031110
	;; [unrolled: 2-line block ×6, first 2 shown]
.long 0xBF820032
.long 0xBF8C0F74
.long 0xD3B24010, 0x18030110
.long 0xBF8C0F73
.long 0xD3B24010, 0x18031110
	;; [unrolled: 2-line block ×5, first 2 shown]
.long 0xBF820022
.long 0xBF8C0F73
.long 0xD3B24010, 0x18030110
.long 0xBF8C0F72
.long 0xD3B24010, 0x18031110
	;; [unrolled: 2-line block ×4, first 2 shown]
.long 0xBF820015
.long 0xBF8C0F72
.long 0xD3B24010, 0x18030110
.long 0xBF8C0F71
.long 0xD3B24010, 0x18031110
	;; [unrolled: 2-line block ×3, first 2 shown]
.long 0xBF82000B
.long 0xBF8C0F71
.long 0xD3B24010, 0x18030110
.long 0xBF8C0F70
.long 0xD3B24010, 0x18031110
.long 0xBF820004
.long 0xBF8C0F70
.long 0xD3B24010, 0x18030110
.long 0xBF820000
.long 0x7E1602FF, 0x80000000
.long 0xBEDC0016
.long 0xBEDD0017
	;; [unrolled: 1-line block ×9, first 2 shown]
.long 0xE054D000, 0x80171206
.long 0xBE850032
.long 0x81858105
	;; [unrolled: 1-line block ×6, first 2 shown]
.long 0xE054D000, 0x80178006
.long 0x81858105
.long 0x805C565C
.long 0x825D575D
.long 0xBF008005
.long 0xBF850276
.long 0xE054D000, 0x80178806
.long 0x81858105
.long 0x805C565C
.long 0x825D575D
.long 0xBF008005
.long 0xBF850268
	;; [unrolled: 6-line block ×14, first 2 shown]
.long 0xE054D000, 0x8017F006
.long 0xBF8C0F7E
.long 0xD3B24012, 0x18030112
.long 0x81858105
.long 0xBF05CE05
.long 0xBF850217
.long 0x805C565C
.long 0x825D575D
.long 0xD0C60058, 0x00000A80
.long 0xD1000018, 0x01621706
.long 0xE054D000, 0x80178018
.long 0xBF8C0F7E
.long 0xD3B24012, 0x18031112
.long 0x81858105
.long 0xBF05CE05
.long 0xBF850209
.long 0x805C565C
.long 0x825D575D
.long 0xD0C60058, 0x00000A80
.long 0xD1000018, 0x01621706
.long 0xE054D000, 0x80178818
.long 0xBF8C0F7E
.long 0xD3B24012, 0x18032112
.long 0x81858105
.long 0xBF05CE05
.long 0xBF8501FB
.long 0x805C565C
.long 0x825D575D
.long 0xD0C60058, 0x00000A80
.long 0xD1000018, 0x01621706
.long 0xE054D000, 0x80179018
.long 0xBF8C0F7E
.long 0xD3B24012, 0x18033112
.long 0x81858105
.long 0xBF05CE05
.long 0xBF8501ED
.long 0x805C565C
.long 0x825D575D
.long 0xD0C60058, 0x00000A80
.long 0xD1000018, 0x01621706
.long 0xE054D000, 0x80179818
.long 0xBF8C0F7E
.long 0xD3B24012, 0x18034112
.long 0x81858105
.long 0xBF05CE05
.long 0xBF8501DF
.long 0x805C565C
.long 0x825D575D
.long 0xD0C60058, 0x00000A80
.long 0xD1000018, 0x01621706
.long 0xE054D000, 0x8017A018
.long 0xBF8C0F7E
.long 0xD3B24012, 0x18035112
.long 0x81858105
.long 0xBF05CE05
.long 0xBF8501D1
.long 0x805C565C
.long 0x825D575D
.long 0xD0C60058, 0x00000A80
.long 0xD1000018, 0x01621706
.long 0xE054D000, 0x8017A818
.long 0xBF8C0F7E
.long 0xD3B24012, 0x18036112
.long 0x81858105
.long 0xBF05CE05
.long 0xBF8501C3
.long 0x805C565C
.long 0x825D575D
.long 0xD0C60058, 0x00000A80
.long 0xD1000018, 0x01621706
.long 0xE054D000, 0x8017B018
.long 0xBF8C0F7E
.long 0xD3B24012, 0x18037112
.long 0x81858105
.long 0xBF05CE05
.long 0xBF8501B5
.long 0x805C565C
.long 0x825D575D
.long 0xD0C60058, 0x00000A80
.long 0xD1000018, 0x01621706
.long 0xE054D000, 0x8017B818
.long 0xBF8C0F7E
.long 0xD3B24012, 0x18038112
.long 0x81858105
.long 0xBF05CE05
.long 0xBF8501A7
.long 0x805C565C
.long 0x825D575D
.long 0xD0C60058, 0x00000A80
.long 0xD1000018, 0x01621706
.long 0xE054D000, 0x8017C018
.long 0xBF8C0F7E
.long 0xD3B24012, 0x18039112
.long 0x81858105
.long 0xBF05CE05
.long 0xBF850199
.long 0x805C565C
.long 0x825D575D
.long 0xD0C60058, 0x00000A80
.long 0xD1000018, 0x01621706
.long 0xE054D000, 0x8017C818
.long 0xBF8C0F7E
.long 0xD3B24012, 0x1803A112
.long 0x81858105
.long 0xBF05CE05
.long 0xBF85018B
.long 0x805C565C
.long 0x825D575D
.long 0xD0C60058, 0x00000A80
.long 0xD1000018, 0x01621706
.long 0xE054D000, 0x8017D018
.long 0xBF8C0F7E
.long 0xD3B24012, 0x1803B112
.long 0x81858105
.long 0xBF05CE05
.long 0xBF85017D
.long 0x805C565C
.long 0x825D575D
.long 0xD0C60058, 0x00000A80
.long 0xD1000018, 0x01621706
.long 0xE054D000, 0x8017D818
.long 0xBF8C0F7E
.long 0xD3B24012, 0x1803C112
.long 0x81858105
.long 0xBF05CE05
.long 0xBF85016F
.long 0x805C565C
.long 0x825D575D
.long 0xD0C60058, 0x00000A80
.long 0xD1000018, 0x01621706
.long 0xE054D000, 0x8017E018
.long 0xBF8C0F7E
.long 0xD3B24012, 0x1803D112
.long 0x81858105
.long 0xBF05CE05
.long 0xBF850161
.long 0x805C565C
.long 0x825D575D
.long 0xD0C60058, 0x00000A80
.long 0xD1000018, 0x01621706
.long 0xE054D000, 0x8017E818
.long 0xBF8C0F7E
.long 0xD3B24012, 0x1803E112
.long 0x81858105
.long 0xBF05CE05
.long 0xBF850153
.long 0x805C565C
.long 0x825D575D
.long 0xD0C60058, 0x00000A80
.long 0xD1000018, 0x01621706
.long 0xE054D000, 0x8017F018
.long 0xBF02CE05
.long 0xBF85FF2C
	;; [unrolled: 1-line block ×3, first 2 shown]
.long 0xD3B24012, 0x18030112
.long 0xBF8C0F7C
.long 0xD3B24012, 0x18031112
.long 0xBF8C0F7B
.long 0xD3B24012, 0x18032112
.long 0xBF8C0F7A
.long 0xD3B24012, 0x18033112
.long 0xBF8C0F79
.long 0xD3B24012, 0x18034112
.long 0xBF8C0F78
.long 0xD3B24012, 0x18035112
.long 0xBF8C0F77
.long 0xD3B24012, 0x18036112
.long 0xBF8C0F76
.long 0xD3B24012, 0x18037112
.long 0xBF8C0F75
.long 0xD3B24012, 0x18038112
.long 0xBF8C0F74
.long 0xD3B24012, 0x18039112
.long 0xBF8C0F73
.long 0xD3B24012, 0x1803A112
.long 0xBF8C0F72
.long 0xD3B24012, 0x1803B112
.long 0xBF8C0F71
.long 0xD3B24012, 0x1803C112
.long 0xBF8C0F70
.long 0xD3B24012, 0x1803D112
.long 0xBF82011E
.long 0xBF8C0F7C
.long 0xD3B24012, 0x18030112
.long 0xBF8C0F7B
.long 0xD3B24012, 0x18031112
	;; [unrolled: 2-line block ×13, first 2 shown]
.long 0xBF8200F6
.long 0xBF8C0F7B
.long 0xD3B24012, 0x18030112
.long 0xBF8C0F7A
.long 0xD3B24012, 0x18031112
.long 0xBF8C0F79
.long 0xD3B24012, 0x18032112
.long 0xBF8C0F78
.long 0xD3B24012, 0x18033112
.long 0xBF8C0F77
.long 0xD3B24012, 0x18034112
.long 0xBF8C0F76
.long 0xD3B24012, 0x18035112
.long 0xBF8C0F75
.long 0xD3B24012, 0x18036112
.long 0xBF8C0F74
.long 0xD3B24012, 0x18037112
.long 0xBF8C0F73
.long 0xD3B24012, 0x18038112
.long 0xBF8C0F72
.long 0xD3B24012, 0x18039112
.long 0xBF8C0F71
.long 0xD3B24012, 0x1803A112
.long 0xBF8C0F70
.long 0xD3B24012, 0x1803B112
.long 0xBF8200D1
.long 0xBF8C0F7A
.long 0xD3B24012, 0x18030112
.long 0xBF8C0F79
.long 0xD3B24012, 0x18031112
	;; [unrolled: 2-line block ×11, first 2 shown]
.long 0xBF8200AF
.long 0xBF8C0F79
.long 0xD3B24012, 0x18030112
.long 0xBF8C0F78
.long 0xD3B24012, 0x18031112
	;; [unrolled: 2-line block ×10, first 2 shown]
.long 0xBF820090
.long 0xBF8C0F78
.long 0xD3B24012, 0x18030112
.long 0xBF8C0F77
.long 0xD3B24012, 0x18031112
	;; [unrolled: 2-line block ×9, first 2 shown]
.long 0xBF820074
.long 0xBF8C0F77
.long 0xD3B24012, 0x18030112
.long 0xBF8C0F76
.long 0xD3B24012, 0x18031112
	;; [unrolled: 2-line block ×8, first 2 shown]
.long 0xBF82005B
.long 0xBF8C0F76
.long 0xD3B24012, 0x18030112
.long 0xBF8C0F75
.long 0xD3B24012, 0x18031112
	;; [unrolled: 2-line block ×7, first 2 shown]
.long 0xBF820045
.long 0xBF8C0F75
.long 0xD3B24012, 0x18030112
.long 0xBF8C0F74
.long 0xD3B24012, 0x18031112
	;; [unrolled: 2-line block ×6, first 2 shown]
.long 0xBF820032
.long 0xBF8C0F74
.long 0xD3B24012, 0x18030112
.long 0xBF8C0F73
.long 0xD3B24012, 0x18031112
	;; [unrolled: 2-line block ×5, first 2 shown]
.long 0xBF820022
.long 0xBF8C0F73
.long 0xD3B24012, 0x18030112
.long 0xBF8C0F72
.long 0xD3B24012, 0x18031112
	;; [unrolled: 2-line block ×4, first 2 shown]
.long 0xBF820015
.long 0xBF8C0F72
.long 0xD3B24012, 0x18030112
.long 0xBF8C0F71
.long 0xD3B24012, 0x18031112
	;; [unrolled: 2-line block ×3, first 2 shown]
.long 0xBF82000B
.long 0xBF8C0F71
.long 0xD3B24012, 0x18030112
.long 0xBF8C0F70
.long 0xD3B24012, 0x18031112
.long 0xBF820004
.long 0xBF8C0F70
.long 0xD3B24012, 0x18030112
.long 0xBF820000
.long 0x7E1602FF, 0x80000000
.long 0xBEDC0016
.long 0xBEDD0017
	;; [unrolled: 1-line block ×9, first 2 shown]
.long 0xE054D000, 0x80171406
.long 0xBE850032
.long 0x81858105
	;; [unrolled: 1-line block ×6, first 2 shown]
.long 0xE054D000, 0x80178006
.long 0x81858105
.long 0x805C565C
.long 0x825D575D
.long 0xBF008005
.long 0xBF850276
.long 0xE054D000, 0x80178806
.long 0x81858105
.long 0x805C565C
.long 0x825D575D
.long 0xBF008005
.long 0xBF850268
	;; [unrolled: 6-line block ×14, first 2 shown]
.long 0xE054D000, 0x8017F006
.long 0xBF8C0F7E
.long 0xD3B24014, 0x18030114
.long 0x81858105
.long 0xBF05CE05
.long 0xBF850217
.long 0x805C565C
.long 0x825D575D
.long 0xD0C60058, 0x00000A80
.long 0xD1000018, 0x01621706
.long 0xE054D000, 0x80178018
.long 0xBF8C0F7E
.long 0xD3B24014, 0x18031114
.long 0x81858105
.long 0xBF05CE05
.long 0xBF850209
.long 0x805C565C
.long 0x825D575D
.long 0xD0C60058, 0x00000A80
.long 0xD1000018, 0x01621706
	;; [unrolled: 10-line block ×15, first 2 shown]
.long 0xE054D000, 0x8017F018
.long 0xBF02CE05
.long 0xBF85FF2C
.long 0xBF8C0F7D
.long 0xD3B24014, 0x18030114
.long 0xBF8C0F7C
.long 0xD3B24014, 0x18031114
.long 0xBF8C0F7B
	;; [unrolled: 2-line block ×14, first 2 shown]
.long 0xBF8C0F7C
.long 0xD3B24014, 0x18030114
.long 0xBF8C0F7B
.long 0xD3B24014, 0x18031114
	;; [unrolled: 2-line block ×13, first 2 shown]
.long 0xBF8200F6
.long 0xBF8C0F7B
.long 0xD3B24014, 0x18030114
.long 0xBF8C0F7A
.long 0xD3B24014, 0x18031114
	;; [unrolled: 2-line block ×12, first 2 shown]
.long 0xBF8200D1
.long 0xBF8C0F7A
.long 0xD3B24014, 0x18030114
.long 0xBF8C0F79
.long 0xD3B24014, 0x18031114
	;; [unrolled: 2-line block ×11, first 2 shown]
.long 0xBF8200AF
.long 0xBF8C0F79
.long 0xD3B24014, 0x18030114
.long 0xBF8C0F78
.long 0xD3B24014, 0x18031114
	;; [unrolled: 2-line block ×10, first 2 shown]
.long 0xBF820090
.long 0xBF8C0F78
.long 0xD3B24014, 0x18030114
.long 0xBF8C0F77
.long 0xD3B24014, 0x18031114
	;; [unrolled: 2-line block ×9, first 2 shown]
.long 0xBF820074
.long 0xBF8C0F77
.long 0xD3B24014, 0x18030114
.long 0xBF8C0F76
.long 0xD3B24014, 0x18031114
	;; [unrolled: 2-line block ×8, first 2 shown]
.long 0xBF82005B
.long 0xBF8C0F76
.long 0xD3B24014, 0x18030114
.long 0xBF8C0F75
.long 0xD3B24014, 0x18031114
	;; [unrolled: 2-line block ×7, first 2 shown]
.long 0xBF820045
.long 0xBF8C0F75
.long 0xD3B24014, 0x18030114
.long 0xBF8C0F74
.long 0xD3B24014, 0x18031114
	;; [unrolled: 2-line block ×6, first 2 shown]
.long 0xBF820032
.long 0xBF8C0F74
.long 0xD3B24014, 0x18030114
.long 0xBF8C0F73
.long 0xD3B24014, 0x18031114
	;; [unrolled: 2-line block ×5, first 2 shown]
.long 0xBF820022
.long 0xBF8C0F73
.long 0xD3B24014, 0x18030114
.long 0xBF8C0F72
.long 0xD3B24014, 0x18031114
	;; [unrolled: 2-line block ×4, first 2 shown]
.long 0xBF820015
.long 0xBF8C0F72
.long 0xD3B24014, 0x18030114
.long 0xBF8C0F71
.long 0xD3B24014, 0x18031114
	;; [unrolled: 2-line block ×3, first 2 shown]
.long 0xBF82000B
.long 0xBF8C0F71
.long 0xD3B24014, 0x18030114
.long 0xBF8C0F70
.long 0xD3B24014, 0x18031114
.long 0xBF820004
.long 0xBF8C0F70
.long 0xD3B24014, 0x18030114
.long 0xBF820000
.long 0x7E1602FF, 0x80000000
.long 0xBEDC0016
.long 0xBEDD0017
	;; [unrolled: 1-line block ×9, first 2 shown]
.long 0xE054D000, 0x80171606
.long 0xBE850032
.long 0x81858105
.long 0x805C565C
.long 0x825D575D
.long 0xBF008005
.long 0xBF850281
.long 0xE054D000, 0x80178006
.long 0x81858105
.long 0x805C565C
.long 0x825D575D
.long 0xBF008005
.long 0xBF850276
.long 0xE054D000, 0x80178806
.long 0x81858105
.long 0x805C565C
.long 0x825D575D
.long 0xBF008005
.long 0xBF850268
	;; [unrolled: 6-line block ×14, first 2 shown]
.long 0xE054D000, 0x8017F006
.long 0xBF8C0F7E
.long 0xD3B24016, 0x18030116
.long 0x81858105
.long 0xBF05CE05
.long 0xBF850217
.long 0x805C565C
.long 0x825D575D
.long 0xD0C60058, 0x00000A80
.long 0xD1000018, 0x01621706
.long 0xE054D000, 0x80178018
.long 0xBF8C0F7E
.long 0xD3B24016, 0x18031116
.long 0x81858105
.long 0xBF05CE05
.long 0xBF850209
.long 0x805C565C
.long 0x825D575D
.long 0xD0C60058, 0x00000A80
.long 0xD1000018, 0x01621706
	;; [unrolled: 10-line block ×15, first 2 shown]
.long 0xE054D000, 0x8017F018
.long 0xBF02CE05
.long 0xBF85FF2C
	;; [unrolled: 1-line block ×3, first 2 shown]
.long 0xD3B24016, 0x18030116
.long 0xBF8C0F7C
.long 0xD3B24016, 0x18031116
.long 0xBF8C0F7B
	;; [unrolled: 2-line block ×14, first 2 shown]
.long 0xBF8C0F7C
.long 0xD3B24016, 0x18030116
.long 0xBF8C0F7B
.long 0xD3B24016, 0x18031116
	;; [unrolled: 2-line block ×13, first 2 shown]
.long 0xBF8200F6
.long 0xBF8C0F7B
.long 0xD3B24016, 0x18030116
.long 0xBF8C0F7A
.long 0xD3B24016, 0x18031116
	;; [unrolled: 2-line block ×12, first 2 shown]
.long 0xBF8200D1
.long 0xBF8C0F7A
.long 0xD3B24016, 0x18030116
.long 0xBF8C0F79
.long 0xD3B24016, 0x18031116
	;; [unrolled: 2-line block ×11, first 2 shown]
.long 0xBF8200AF
.long 0xBF8C0F79
.long 0xD3B24016, 0x18030116
.long 0xBF8C0F78
.long 0xD3B24016, 0x18031116
	;; [unrolled: 2-line block ×10, first 2 shown]
.long 0xBF820090
.long 0xBF8C0F78
.long 0xD3B24016, 0x18030116
.long 0xBF8C0F77
.long 0xD3B24016, 0x18031116
	;; [unrolled: 2-line block ×9, first 2 shown]
.long 0xBF820074
.long 0xBF8C0F77
.long 0xD3B24016, 0x18030116
.long 0xBF8C0F76
.long 0xD3B24016, 0x18031116
	;; [unrolled: 2-line block ×8, first 2 shown]
.long 0xBF82005B
.long 0xBF8C0F76
.long 0xD3B24016, 0x18030116
.long 0xBF8C0F75
.long 0xD3B24016, 0x18031116
	;; [unrolled: 2-line block ×7, first 2 shown]
.long 0xBF820045
.long 0xBF8C0F75
.long 0xD3B24016, 0x18030116
.long 0xBF8C0F74
.long 0xD3B24016, 0x18031116
	;; [unrolled: 2-line block ×6, first 2 shown]
.long 0xBF820032
.long 0xBF8C0F74
.long 0xD3B24016, 0x18030116
.long 0xBF8C0F73
.long 0xD3B24016, 0x18031116
	;; [unrolled: 2-line block ×5, first 2 shown]
.long 0xBF820022
.long 0xBF8C0F73
.long 0xD3B24016, 0x18030116
.long 0xBF8C0F72
.long 0xD3B24016, 0x18031116
.long 0xBF8C0F71
.long 0xD3B24016, 0x18032116
.long 0xBF8C0F70
.long 0xD3B24016, 0x18033116
.long 0xBF820015
.long 0xBF8C0F72
.long 0xD3B24016, 0x18030116
.long 0xBF8C0F71
.long 0xD3B24016, 0x18031116
	;; [unrolled: 2-line block ×3, first 2 shown]
.long 0xBF82000B
.long 0xBF8C0F71
.long 0xD3B24016, 0x18030116
.long 0xBF8C0F70
.long 0xD3B24016, 0x18031116
.long 0xBF820004
.long 0xBF8C0F70
.long 0xD3B24016, 0x18030116
.long 0xBF820000
.long 0x0A202030
.long 0x0A222230
.long 0x0A242430
.long 0x0A262630
.long 0x0A282830
.long 0x0A2A2A30
.long 0x0A2C2C30
.long 0x0A2E2E30
.long 0xD0CC0038, 0x0001004A
.long 0xD100000E, 0x00E21CF2
	;; [unrolled: 1-line block ×7, first 2 shown]
.long 0x0A080910
.long 0x0A0808FF, 0x40135761
.long 0x7E084104
.long 0xBF800000
	;; [unrolled: 1-line block ×5, first 2 shown]
.long 0xD1CB0004, 0x03D208F5
.long 0x0A080910
.long 0x0A2008F0
.long 0x0A0822FF, 0x3D372713
.long 0xD1CB0004, 0x03CA0911
.long 0x0A080911
.long 0x0A0808FF, 0x40135761
.long 0x7E084104
.long 0xBF800000
	;; [unrolled: 1-line block ×5, first 2 shown]
.long 0xD1CB0004, 0x03D208F5
.long 0x0A080911
.long 0x0A2208F0
	;; [unrolled: 1-line block ×4, first 2 shown]
.long 0xD2A00010, 0x00022310
.long 0xE070D000, 0x80141007
.long 0xBF800000
.long 0xD0CC0038, 0x0001004A
.long 0xD100000E, 0x00E21CF2
.long 0xD100000F, 0x00E21EF2
.long 0xD3B14012, 0x1802250E
.long 0xD3B24012, 0x1802250C
.long 0x0A0824FF, 0x3D372713
.long 0xD1CB0004, 0x03CA0912
.long 0x0A080912
.long 0x0A0808FF, 0x40135761
.long 0x7E084104
.long 0xBF800000
.long 0x020808F2
.long 0x7E084504
.long 0xBF800000
.long 0xD1CB0004, 0x03D208F5
.long 0x0A080912
.long 0x0A2408F0
.long 0x0A0826FF, 0x3D372713
.long 0xD1CB0004, 0x03CA0913
.long 0x0A080913
.long 0x0A0808FF, 0x40135761
.long 0x7E084104
.long 0xBF800000
.long 0x020808F2
.long 0x7E084504
.long 0xBF800000
.long 0xD1CB0004, 0x03D208F5
.long 0x0A080913
.long 0x0A2608F0
.long 0x7E241512
.long 0x7E261513
.long 0xD2A00012, 0x00022712
.long 0x8E428128
.long 0x80504250
.long 0x82518051
.long 0xE070D000, 0x80141207
.long 0xBF800000
.long 0xD0CC0038, 0x0001004A
.long 0xD100000E, 0x00E21CF2
.long 0xD100000F, 0x00E21EF2
.long 0xD3B14014, 0x1802290E
.long 0xD3B24014, 0x1802290C
.long 0x0A0828FF, 0x3D372713
.long 0xD1CB0004, 0x03CA0914
.long 0x0A080914
.long 0x0A0808FF, 0x40135761
.long 0x7E084104
.long 0xBF800000
.long 0x020808F2
.long 0x7E084504
.long 0xBF800000
.long 0xD1CB0004, 0x03D208F5
.long 0x0A080914
.long 0x0A2808F0
.long 0x0A082AFF, 0x3D372713
.long 0xD1CB0004, 0x03CA0915
.long 0x0A080915
.long 0x0A0808FF, 0x40135761
.long 0x7E084104
.long 0xBF800000
.long 0x020808F2
.long 0x7E084504
.long 0xBF800000
.long 0xD1CB0004, 0x03D208F5
.long 0x0A080915
.long 0x0A2A08F0
.long 0x7E281514
.long 0x7E2A1515
.long 0xD2A00014, 0x00022B14
.long 0x8E428128
.long 0x80504250
.long 0x82518051
	;; [unrolled: 37-line block ×3, first 2 shown]
.long 0xE070D000, 0x80141607
.long 0xBF800000
.long 0xBF800000
	;; [unrolled: 1-line block ×3, first 2 shown]
.long 0x924202FF, 0x00000080
.long 0xD1350009, 0x00008500
.long 0x24121282
.long 0xBF8CC07F
	;; [unrolled: 1-line block ×3, first 2 shown]
.long 0xD8EC0000, 0x0C000009
.long 0x24140082
.long 0xE0541000, 0x80120E0A
.long 0xD1FE0006, 0x020A0103
	;; [unrolled: 1-line block ×11, first 2 shown]
.long 0xBF800001
.long 0xE074D000, 0x80031006
.long 0x8E428228
.long 0x800C420C
.long 0x820D800D
.long 0xE074D000, 0x80031206
.long 0x8E428228
.long 0x800C420C
	;; [unrolled: 4-line block ×4, first 2 shown]
.long 0x92330454
.long 0x92411403
	;; [unrolled: 1-line block ×14, first 2 shown]
.long 0xC2330CCC, 0x00000000
.long 0x965B811C
.long 0x925A811C
.long 0x80DE811D
.long 0x925E815E
.long 0x965D2A5E
.long 0x925C2A5E
.long 0x805A5C5A
.long 0x825B5D5B
.long 0x80DE811E
.long 0x925E815E
.long 0x965D2B5E
.long 0x925C2B5E
.long 0x805A5C5A
.long 0x825B5D5B
.long 0x8ED6825A
.long 0x7E1602FF, 0x80000000
.long 0xBEDC0016
.long 0xBEDD0017
	;; [unrolled: 1-line block ×7, first 2 shown]
.long 0xE054D000, 0x80171006
.long 0xBE850032
.long 0x81858105
	;; [unrolled: 1-line block ×6, first 2 shown]
.long 0xE054D000, 0x80178006
.long 0x81858105
.long 0x805C565C
.long 0x825D575D
.long 0xBF008005
.long 0xBF850276
.long 0xE054D000, 0x80178806
.long 0x81858105
.long 0x805C565C
.long 0x825D575D
.long 0xBF008005
.long 0xBF850268
	;; [unrolled: 6-line block ×14, first 2 shown]
.long 0xE054D000, 0x8017F006
.long 0xBF8C0F7E
.long 0xD3B24010, 0x18030110
.long 0x81858105
.long 0xBF05CE05
.long 0xBF850217
.long 0x805C565C
.long 0x825D575D
.long 0xD0C60058, 0x00000A80
.long 0xD1000018, 0x01621706
.long 0xE054D000, 0x80178018
.long 0xBF8C0F7E
.long 0xD3B24010, 0x18031110
.long 0x81858105
.long 0xBF05CE05
.long 0xBF850209
.long 0x805C565C
.long 0x825D575D
.long 0xD0C60058, 0x00000A80
.long 0xD1000018, 0x01621706
	;; [unrolled: 10-line block ×15, first 2 shown]
.long 0xE054D000, 0x8017F018
.long 0xBF02CE05
.long 0xBF85FF2C
	;; [unrolled: 1-line block ×3, first 2 shown]
.long 0xD3B24010, 0x18030110
.long 0xBF8C0F7C
.long 0xD3B24010, 0x18031110
.long 0xBF8C0F7B
	;; [unrolled: 2-line block ×14, first 2 shown]
.long 0xBF8C0F7C
.long 0xD3B24010, 0x18030110
.long 0xBF8C0F7B
.long 0xD3B24010, 0x18031110
	;; [unrolled: 2-line block ×13, first 2 shown]
.long 0xBF8200F6
.long 0xBF8C0F7B
.long 0xD3B24010, 0x18030110
.long 0xBF8C0F7A
.long 0xD3B24010, 0x18031110
	;; [unrolled: 2-line block ×12, first 2 shown]
.long 0xBF8200D1
.long 0xBF8C0F7A
.long 0xD3B24010, 0x18030110
.long 0xBF8C0F79
.long 0xD3B24010, 0x18031110
.long 0xBF8C0F78
.long 0xD3B24010, 0x18032110
.long 0xBF8C0F77
.long 0xD3B24010, 0x18033110
.long 0xBF8C0F76
.long 0xD3B24010, 0x18034110
.long 0xBF8C0F75
.long 0xD3B24010, 0x18035110
.long 0xBF8C0F74
.long 0xD3B24010, 0x18036110
.long 0xBF8C0F73
.long 0xD3B24010, 0x18037110
.long 0xBF8C0F72
.long 0xD3B24010, 0x18038110
.long 0xBF8C0F71
.long 0xD3B24010, 0x18039110
.long 0xBF8C0F70
.long 0xD3B24010, 0x1803A110
.long 0xBF8200AF
.long 0xBF8C0F79
.long 0xD3B24010, 0x18030110
.long 0xBF8C0F78
.long 0xD3B24010, 0x18031110
	;; [unrolled: 2-line block ×10, first 2 shown]
.long 0xBF820090
.long 0xBF8C0F78
.long 0xD3B24010, 0x18030110
.long 0xBF8C0F77
.long 0xD3B24010, 0x18031110
	;; [unrolled: 2-line block ×9, first 2 shown]
.long 0xBF820074
.long 0xBF8C0F77
.long 0xD3B24010, 0x18030110
.long 0xBF8C0F76
.long 0xD3B24010, 0x18031110
	;; [unrolled: 2-line block ×8, first 2 shown]
.long 0xBF82005B
.long 0xBF8C0F76
.long 0xD3B24010, 0x18030110
.long 0xBF8C0F75
.long 0xD3B24010, 0x18031110
	;; [unrolled: 2-line block ×7, first 2 shown]
.long 0xBF820045
.long 0xBF8C0F75
.long 0xD3B24010, 0x18030110
.long 0xBF8C0F74
.long 0xD3B24010, 0x18031110
	;; [unrolled: 2-line block ×6, first 2 shown]
.long 0xBF820032
.long 0xBF8C0F74
.long 0xD3B24010, 0x18030110
.long 0xBF8C0F73
.long 0xD3B24010, 0x18031110
	;; [unrolled: 2-line block ×5, first 2 shown]
.long 0xBF820022
.long 0xBF8C0F73
.long 0xD3B24010, 0x18030110
.long 0xBF8C0F72
.long 0xD3B24010, 0x18031110
	;; [unrolled: 2-line block ×4, first 2 shown]
.long 0xBF820015
.long 0xBF8C0F72
.long 0xD3B24010, 0x18030110
.long 0xBF8C0F71
.long 0xD3B24010, 0x18031110
	;; [unrolled: 2-line block ×3, first 2 shown]
.long 0xBF82000B
.long 0xBF8C0F71
.long 0xD3B24010, 0x18030110
.long 0xBF8C0F70
.long 0xD3B24010, 0x18031110
.long 0xBF820004
.long 0xBF8C0F70
.long 0xD3B24010, 0x18030110
.long 0xBF820000
.long 0x7E1602FF, 0x80000000
.long 0xBEDC0016
.long 0xBEDD0017
	;; [unrolled: 1-line block ×9, first 2 shown]
.long 0xE054D000, 0x80171206
.long 0xBE850032
.long 0x81858105
	;; [unrolled: 1-line block ×6, first 2 shown]
.long 0xE054D000, 0x80178006
.long 0x81858105
.long 0x805C565C
.long 0x825D575D
.long 0xBF008005
.long 0xBF850276
.long 0xE054D000, 0x80178806
.long 0x81858105
.long 0x805C565C
.long 0x825D575D
.long 0xBF008005
.long 0xBF850268
	;; [unrolled: 6-line block ×14, first 2 shown]
.long 0xE054D000, 0x8017F006
.long 0xBF8C0F7E
.long 0xD3B24012, 0x18030112
.long 0x81858105
.long 0xBF05CE05
.long 0xBF850217
.long 0x805C565C
.long 0x825D575D
.long 0xD0C60058, 0x00000A80
.long 0xD1000018, 0x01621706
.long 0xE054D000, 0x80178018
.long 0xBF8C0F7E
.long 0xD3B24012, 0x18031112
.long 0x81858105
.long 0xBF05CE05
.long 0xBF850209
.long 0x805C565C
.long 0x825D575D
.long 0xD0C60058, 0x00000A80
.long 0xD1000018, 0x01621706
	;; [unrolled: 10-line block ×15, first 2 shown]
.long 0xE054D000, 0x8017F018
.long 0xBF02CE05
.long 0xBF85FF2C
	;; [unrolled: 1-line block ×3, first 2 shown]
.long 0xD3B24012, 0x18030112
.long 0xBF8C0F7C
.long 0xD3B24012, 0x18031112
.long 0xBF8C0F7B
	;; [unrolled: 2-line block ×14, first 2 shown]
.long 0xBF8C0F7C
.long 0xD3B24012, 0x18030112
.long 0xBF8C0F7B
.long 0xD3B24012, 0x18031112
.long 0xBF8C0F7A
.long 0xD3B24012, 0x18032112
.long 0xBF8C0F79
.long 0xD3B24012, 0x18033112
.long 0xBF8C0F78
.long 0xD3B24012, 0x18034112
.long 0xBF8C0F77
.long 0xD3B24012, 0x18035112
.long 0xBF8C0F76
.long 0xD3B24012, 0x18036112
.long 0xBF8C0F75
.long 0xD3B24012, 0x18037112
.long 0xBF8C0F74
.long 0xD3B24012, 0x18038112
.long 0xBF8C0F73
.long 0xD3B24012, 0x18039112
.long 0xBF8C0F72
.long 0xD3B24012, 0x1803A112
.long 0xBF8C0F71
.long 0xD3B24012, 0x1803B112
.long 0xBF8C0F70
.long 0xD3B24012, 0x1803C112
.long 0xBF8200F6
.long 0xBF8C0F7B
.long 0xD3B24012, 0x18030112
.long 0xBF8C0F7A
.long 0xD3B24012, 0x18031112
	;; [unrolled: 2-line block ×12, first 2 shown]
.long 0xBF8200D1
.long 0xBF8C0F7A
.long 0xD3B24012, 0x18030112
.long 0xBF8C0F79
.long 0xD3B24012, 0x18031112
	;; [unrolled: 2-line block ×11, first 2 shown]
.long 0xBF8200AF
.long 0xBF8C0F79
.long 0xD3B24012, 0x18030112
.long 0xBF8C0F78
.long 0xD3B24012, 0x18031112
	;; [unrolled: 2-line block ×10, first 2 shown]
.long 0xBF820090
.long 0xBF8C0F78
.long 0xD3B24012, 0x18030112
.long 0xBF8C0F77
.long 0xD3B24012, 0x18031112
	;; [unrolled: 2-line block ×9, first 2 shown]
.long 0xBF820074
.long 0xBF8C0F77
.long 0xD3B24012, 0x18030112
.long 0xBF8C0F76
.long 0xD3B24012, 0x18031112
	;; [unrolled: 2-line block ×8, first 2 shown]
.long 0xBF82005B
.long 0xBF8C0F76
.long 0xD3B24012, 0x18030112
.long 0xBF8C0F75
.long 0xD3B24012, 0x18031112
	;; [unrolled: 2-line block ×7, first 2 shown]
.long 0xBF820045
.long 0xBF8C0F75
.long 0xD3B24012, 0x18030112
.long 0xBF8C0F74
.long 0xD3B24012, 0x18031112
	;; [unrolled: 2-line block ×6, first 2 shown]
.long 0xBF820032
.long 0xBF8C0F74
.long 0xD3B24012, 0x18030112
.long 0xBF8C0F73
.long 0xD3B24012, 0x18031112
	;; [unrolled: 2-line block ×5, first 2 shown]
.long 0xBF820022
.long 0xBF8C0F73
.long 0xD3B24012, 0x18030112
.long 0xBF8C0F72
.long 0xD3B24012, 0x18031112
	;; [unrolled: 2-line block ×4, first 2 shown]
.long 0xBF820015
.long 0xBF8C0F72
.long 0xD3B24012, 0x18030112
.long 0xBF8C0F71
.long 0xD3B24012, 0x18031112
	;; [unrolled: 2-line block ×3, first 2 shown]
.long 0xBF82000B
.long 0xBF8C0F71
.long 0xD3B24012, 0x18030112
.long 0xBF8C0F70
.long 0xD3B24012, 0x18031112
.long 0xBF820004
.long 0xBF8C0F70
.long 0xD3B24012, 0x18030112
.long 0xBF820000
.long 0x7E1602FF, 0x80000000
.long 0xBEDC0016
.long 0xBEDD0017
	;; [unrolled: 1-line block ×9, first 2 shown]
.long 0xE054D000, 0x80171406
.long 0xBE850032
.long 0x81858105
	;; [unrolled: 1-line block ×6, first 2 shown]
.long 0xE054D000, 0x80178006
.long 0x81858105
.long 0x805C565C
.long 0x825D575D
.long 0xBF008005
.long 0xBF850276
.long 0xE054D000, 0x80178806
.long 0x81858105
.long 0x805C565C
.long 0x825D575D
.long 0xBF008005
.long 0xBF850268
	;; [unrolled: 6-line block ×14, first 2 shown]
.long 0xE054D000, 0x8017F006
.long 0xBF8C0F7E
.long 0xD3B24014, 0x18030114
.long 0x81858105
.long 0xBF05CE05
.long 0xBF850217
.long 0x805C565C
.long 0x825D575D
.long 0xD0C60058, 0x00000A80
.long 0xD1000018, 0x01621706
.long 0xE054D000, 0x80178018
.long 0xBF8C0F7E
.long 0xD3B24014, 0x18031114
.long 0x81858105
.long 0xBF05CE05
.long 0xBF850209
.long 0x805C565C
.long 0x825D575D
.long 0xD0C60058, 0x00000A80
.long 0xD1000018, 0x01621706
	;; [unrolled: 10-line block ×15, first 2 shown]
.long 0xE054D000, 0x8017F018
.long 0xBF02CE05
.long 0xBF85FF2C
	;; [unrolled: 1-line block ×3, first 2 shown]
.long 0xD3B24014, 0x18030114
.long 0xBF8C0F7C
.long 0xD3B24014, 0x18031114
.long 0xBF8C0F7B
	;; [unrolled: 2-line block ×14, first 2 shown]
.long 0xBF8C0F7C
.long 0xD3B24014, 0x18030114
.long 0xBF8C0F7B
.long 0xD3B24014, 0x18031114
	;; [unrolled: 2-line block ×13, first 2 shown]
.long 0xBF8200F6
.long 0xBF8C0F7B
.long 0xD3B24014, 0x18030114
.long 0xBF8C0F7A
.long 0xD3B24014, 0x18031114
	;; [unrolled: 2-line block ×12, first 2 shown]
.long 0xBF8200D1
.long 0xBF8C0F7A
.long 0xD3B24014, 0x18030114
.long 0xBF8C0F79
.long 0xD3B24014, 0x18031114
	;; [unrolled: 2-line block ×11, first 2 shown]
.long 0xBF8200AF
.long 0xBF8C0F79
.long 0xD3B24014, 0x18030114
.long 0xBF8C0F78
.long 0xD3B24014, 0x18031114
	;; [unrolled: 2-line block ×10, first 2 shown]
.long 0xBF820090
.long 0xBF8C0F78
.long 0xD3B24014, 0x18030114
.long 0xBF8C0F77
.long 0xD3B24014, 0x18031114
	;; [unrolled: 2-line block ×9, first 2 shown]
.long 0xBF820074
.long 0xBF8C0F77
.long 0xD3B24014, 0x18030114
.long 0xBF8C0F76
.long 0xD3B24014, 0x18031114
	;; [unrolled: 2-line block ×8, first 2 shown]
.long 0xBF82005B
.long 0xBF8C0F76
.long 0xD3B24014, 0x18030114
.long 0xBF8C0F75
.long 0xD3B24014, 0x18031114
.long 0xBF8C0F74
.long 0xD3B24014, 0x18032114
.long 0xBF8C0F73
.long 0xD3B24014, 0x18033114
.long 0xBF8C0F72
.long 0xD3B24014, 0x18034114
.long 0xBF8C0F71
.long 0xD3B24014, 0x18035114
.long 0xBF8C0F70
.long 0xD3B24014, 0x18036114
.long 0xBF820045
.long 0xBF8C0F75
.long 0xD3B24014, 0x18030114
.long 0xBF8C0F74
.long 0xD3B24014, 0x18031114
	;; [unrolled: 2-line block ×6, first 2 shown]
.long 0xBF820032
.long 0xBF8C0F74
.long 0xD3B24014, 0x18030114
.long 0xBF8C0F73
.long 0xD3B24014, 0x18031114
	;; [unrolled: 2-line block ×5, first 2 shown]
.long 0xBF820022
.long 0xBF8C0F73
.long 0xD3B24014, 0x18030114
.long 0xBF8C0F72
.long 0xD3B24014, 0x18031114
	;; [unrolled: 2-line block ×4, first 2 shown]
.long 0xBF820015
.long 0xBF8C0F72
.long 0xD3B24014, 0x18030114
.long 0xBF8C0F71
.long 0xD3B24014, 0x18031114
	;; [unrolled: 2-line block ×3, first 2 shown]
.long 0xBF82000B
.long 0xBF8C0F71
.long 0xD3B24014, 0x18030114
.long 0xBF8C0F70
.long 0xD3B24014, 0x18031114
.long 0xBF820004
.long 0xBF8C0F70
.long 0xD3B24014, 0x18030114
.long 0xBF820000
.long 0x7E1602FF, 0x80000000
.long 0xBEDC0016
.long 0xBEDD0017
	;; [unrolled: 1-line block ×9, first 2 shown]
.long 0xE054D000, 0x80171606
.long 0xBE850032
.long 0x81858105
.long 0x805C565C
.long 0x825D575D
.long 0xBF008005
.long 0xBF850281
.long 0xE054D000, 0x80178006
.long 0x81858105
.long 0x805C565C
.long 0x825D575D
.long 0xBF008005
.long 0xBF850276
.long 0xE054D000, 0x80178806
.long 0x81858105
.long 0x805C565C
.long 0x825D575D
.long 0xBF008005
.long 0xBF850268
	;; [unrolled: 6-line block ×14, first 2 shown]
.long 0xE054D000, 0x8017F006
.long 0xBF8C0F7E
.long 0xD3B24016, 0x18030116
.long 0x81858105
.long 0xBF05CE05
.long 0xBF850217
.long 0x805C565C
.long 0x825D575D
.long 0xD0C60058, 0x00000A80
.long 0xD1000018, 0x01621706
.long 0xE054D000, 0x80178018
.long 0xBF8C0F7E
.long 0xD3B24016, 0x18031116
.long 0x81858105
.long 0xBF05CE05
.long 0xBF850209
.long 0x805C565C
.long 0x825D575D
.long 0xD0C60058, 0x00000A80
.long 0xD1000018, 0x01621706
.long 0xE054D000, 0x80178818
.long 0xBF8C0F7E
.long 0xD3B24016, 0x18032116
.long 0x81858105
.long 0xBF05CE05
.long 0xBF8501FB
.long 0x805C565C
.long 0x825D575D
.long 0xD0C60058, 0x00000A80
.long 0xD1000018, 0x01621706
.long 0xE054D000, 0x80179018
.long 0xBF8C0F7E
.long 0xD3B24016, 0x18033116
.long 0x81858105
.long 0xBF05CE05
.long 0xBF8501ED
.long 0x805C565C
.long 0x825D575D
.long 0xD0C60058, 0x00000A80
.long 0xD1000018, 0x01621706
.long 0xE054D000, 0x80179818
.long 0xBF8C0F7E
.long 0xD3B24016, 0x18034116
.long 0x81858105
.long 0xBF05CE05
.long 0xBF8501DF
.long 0x805C565C
.long 0x825D575D
.long 0xD0C60058, 0x00000A80
.long 0xD1000018, 0x01621706
.long 0xE054D000, 0x8017A018
.long 0xBF8C0F7E
.long 0xD3B24016, 0x18035116
.long 0x81858105
.long 0xBF05CE05
.long 0xBF8501D1
.long 0x805C565C
.long 0x825D575D
.long 0xD0C60058, 0x00000A80
.long 0xD1000018, 0x01621706
.long 0xE054D000, 0x8017A818
.long 0xBF8C0F7E
.long 0xD3B24016, 0x18036116
.long 0x81858105
.long 0xBF05CE05
.long 0xBF8501C3
.long 0x805C565C
.long 0x825D575D
.long 0xD0C60058, 0x00000A80
.long 0xD1000018, 0x01621706
.long 0xE054D000, 0x8017B018
.long 0xBF8C0F7E
.long 0xD3B24016, 0x18037116
.long 0x81858105
.long 0xBF05CE05
.long 0xBF8501B5
.long 0x805C565C
.long 0x825D575D
.long 0xD0C60058, 0x00000A80
.long 0xD1000018, 0x01621706
.long 0xE054D000, 0x8017B818
.long 0xBF8C0F7E
.long 0xD3B24016, 0x18038116
.long 0x81858105
.long 0xBF05CE05
.long 0xBF8501A7
.long 0x805C565C
.long 0x825D575D
.long 0xD0C60058, 0x00000A80
.long 0xD1000018, 0x01621706
.long 0xE054D000, 0x8017C018
.long 0xBF8C0F7E
.long 0xD3B24016, 0x18039116
.long 0x81858105
.long 0xBF05CE05
.long 0xBF850199
.long 0x805C565C
.long 0x825D575D
.long 0xD0C60058, 0x00000A80
.long 0xD1000018, 0x01621706
.long 0xE054D000, 0x8017C818
.long 0xBF8C0F7E
.long 0xD3B24016, 0x1803A116
.long 0x81858105
.long 0xBF05CE05
.long 0xBF85018B
.long 0x805C565C
.long 0x825D575D
.long 0xD0C60058, 0x00000A80
.long 0xD1000018, 0x01621706
.long 0xE054D000, 0x8017D018
.long 0xBF8C0F7E
.long 0xD3B24016, 0x1803B116
.long 0x81858105
.long 0xBF05CE05
.long 0xBF85017D
.long 0x805C565C
.long 0x825D575D
.long 0xD0C60058, 0x00000A80
.long 0xD1000018, 0x01621706
.long 0xE054D000, 0x8017D818
.long 0xBF8C0F7E
.long 0xD3B24016, 0x1803C116
.long 0x81858105
.long 0xBF05CE05
.long 0xBF85016F
.long 0x805C565C
.long 0x825D575D
.long 0xD0C60058, 0x00000A80
.long 0xD1000018, 0x01621706
.long 0xE054D000, 0x8017E018
.long 0xBF8C0F7E
.long 0xD3B24016, 0x1803D116
.long 0x81858105
.long 0xBF05CE05
.long 0xBF850161
.long 0x805C565C
.long 0x825D575D
.long 0xD0C60058, 0x00000A80
.long 0xD1000018, 0x01621706
.long 0xE054D000, 0x8017E818
.long 0xBF8C0F7E
.long 0xD3B24016, 0x1803E116
.long 0x81858105
.long 0xBF05CE05
.long 0xBF850153
.long 0x805C565C
.long 0x825D575D
.long 0xD0C60058, 0x00000A80
.long 0xD1000018, 0x01621706
.long 0xE054D000, 0x8017F018
.long 0xBF02CE05
.long 0xBF85FF2C
	;; [unrolled: 1-line block ×3, first 2 shown]
.long 0xD3B24016, 0x18030116
.long 0xBF8C0F7C
.long 0xD3B24016, 0x18031116
.long 0xBF8C0F7B
	;; [unrolled: 2-line block ×14, first 2 shown]
.long 0xBF8C0F7C
.long 0xD3B24016, 0x18030116
.long 0xBF8C0F7B
.long 0xD3B24016, 0x18031116
	;; [unrolled: 2-line block ×13, first 2 shown]
.long 0xBF8200F6
.long 0xBF8C0F7B
.long 0xD3B24016, 0x18030116
.long 0xBF8C0F7A
.long 0xD3B24016, 0x18031116
	;; [unrolled: 2-line block ×12, first 2 shown]
.long 0xBF8200D1
.long 0xBF8C0F7A
.long 0xD3B24016, 0x18030116
.long 0xBF8C0F79
.long 0xD3B24016, 0x18031116
	;; [unrolled: 2-line block ×11, first 2 shown]
.long 0xBF8200AF
.long 0xBF8C0F79
.long 0xD3B24016, 0x18030116
.long 0xBF8C0F78
.long 0xD3B24016, 0x18031116
	;; [unrolled: 2-line block ×10, first 2 shown]
.long 0xBF820090
.long 0xBF8C0F78
.long 0xD3B24016, 0x18030116
.long 0xBF8C0F77
.long 0xD3B24016, 0x18031116
	;; [unrolled: 2-line block ×9, first 2 shown]
.long 0xBF820074
.long 0xBF8C0F77
.long 0xD3B24016, 0x18030116
.long 0xBF8C0F76
.long 0xD3B24016, 0x18031116
	;; [unrolled: 2-line block ×8, first 2 shown]
.long 0xBF82005B
.long 0xBF8C0F76
.long 0xD3B24016, 0x18030116
.long 0xBF8C0F75
.long 0xD3B24016, 0x18031116
.long 0xBF8C0F74
.long 0xD3B24016, 0x18032116
.long 0xBF8C0F73
.long 0xD3B24016, 0x18033116
.long 0xBF8C0F72
.long 0xD3B24016, 0x18034116
.long 0xBF8C0F71
.long 0xD3B24016, 0x18035116
.long 0xBF8C0F70
.long 0xD3B24016, 0x18036116
.long 0xBF820045
.long 0xBF8C0F75
.long 0xD3B24016, 0x18030116
.long 0xBF8C0F74
.long 0xD3B24016, 0x18031116
	;; [unrolled: 2-line block ×6, first 2 shown]
.long 0xBF820032
.long 0xBF8C0F74
.long 0xD3B24016, 0x18030116
.long 0xBF8C0F73
.long 0xD3B24016, 0x18031116
	;; [unrolled: 2-line block ×5, first 2 shown]
.long 0xBF820022
.long 0xBF8C0F73
.long 0xD3B24016, 0x18030116
.long 0xBF8C0F72
.long 0xD3B24016, 0x18031116
	;; [unrolled: 2-line block ×4, first 2 shown]
.long 0xBF820015
.long 0xBF8C0F72
.long 0xD3B24016, 0x18030116
.long 0xBF8C0F71
.long 0xD3B24016, 0x18031116
	;; [unrolled: 2-line block ×3, first 2 shown]
.long 0xBF82000B
.long 0xBF8C0F71
.long 0xD3B24016, 0x18030116
.long 0xBF8C0F70
.long 0xD3B24016, 0x18031116
.long 0xBF820004
.long 0xBF8C0F70
.long 0xD3B24016, 0x18030116
.long 0xBF820000
.long 0x0A202030
	;; [unrolled: 1-line block ×9, first 2 shown]
.long 0xD0CC0038, 0x0001004A
.long 0xD100000E, 0x00E21CF2
	;; [unrolled: 1-line block ×5, first 2 shown]
.long 0x0A08203E
.long 0xD046006A, 0x00010110
.long 0x00202104
.long 0x0A08223E
.long 0xD046006A, 0x00010111
.long 0x00222304
.long 0x7E201510
	;; [unrolled: 1-line block ×3, first 2 shown]
.long 0xD2A00010, 0x00022310
.long 0xE070D000, 0x80141007
.long 0xBF800000
.long 0xD0CC0038, 0x0001004A
.long 0xD100000E, 0x00E21CF2
.long 0xD100000F, 0x00E21EF2
.long 0xD3B14012, 0x1802250E
.long 0xD3B24012, 0x1802250C
.long 0x0A08243E
.long 0xD046006A, 0x00010112
.long 0x00242504
.long 0x0A08263E
.long 0xD046006A, 0x00010113
.long 0x00262704
.long 0x7E241512
.long 0x7E261513
.long 0xD2A00012, 0x00022712
.long 0x8E428128
.long 0x80504250
.long 0x82518051
.long 0xE070D000, 0x80141207
.long 0xBF800000
.long 0xD0CC0038, 0x0001004A
.long 0xD100000E, 0x00E21CF2
.long 0xD100000F, 0x00E21EF2
.long 0xD3B14014, 0x1802290E
.long 0xD3B24014, 0x1802290C
.long 0x0A08283E
.long 0xD046006A, 0x00010114
.long 0x00282904
.long 0x0A082A3E
.long 0xD046006A, 0x00010115
.long 0x002A2B04
.long 0x7E281514
.long 0x7E2A1515
.long 0xD2A00014, 0x00022B14
.long 0x8E428128
.long 0x80504250
.long 0x82518051
	;; [unrolled: 19-line block ×3, first 2 shown]
.long 0xE070D000, 0x80141607
.long 0xBF800000
.long 0xBF800000
	;; [unrolled: 1-line block ×3, first 2 shown]
.long 0x924202FF, 0x00000080
.long 0xD1350009, 0x00008500
.long 0x24121282
.long 0xBF8CC07F
	;; [unrolled: 1-line block ×3, first 2 shown]
.long 0xD8EC0000, 0x0C000009
.long 0x24140082
.long 0xE0541000, 0x80120E0A
.long 0xD1FE0006, 0x020A0103
.long 0xD1FE0007, 0x02060103
.long 0xD3D84010, 0x18000100
.long 0xD3D84011, 0x18000104
.long 0xD3D84012, 0x18000101
.long 0xD3D84013, 0x18000105
.long 0xD3D84014, 0x18000102
.long 0xD3D84015, 0x18000106
.long 0xD3D84016, 0x18000103
.long 0xD3D84017, 0x18000107
.long 0xBF800001
.long 0xE074D000, 0x80031006
.long 0x8E428228
.long 0x800C420C
.long 0x820D800D
.long 0xE074D000, 0x80031206
.long 0x8E428228
.long 0x800C420C
	;; [unrolled: 4-line block ×4, first 2 shown]
.long 0x92330454
.long 0x92411403
	;; [unrolled: 1-line block ×14, first 2 shown]
.long 0xC2330CCC, 0x00000000
.long 0x965B811C
.long 0x925A811C
	;; [unrolled: 1-line block ×15, first 2 shown]
.long 0x7E1602FF, 0x80000000
.long 0xBEDC0016
.long 0xBEDD0017
	;; [unrolled: 1-line block ×7, first 2 shown]
.long 0xE054D000, 0x80171006
.long 0xBE850032
.long 0x81858105
	;; [unrolled: 1-line block ×6, first 2 shown]
.long 0xE054D000, 0x80178006
.long 0x81858105
.long 0x805C565C
.long 0x825D575D
.long 0xBF008005
.long 0xBF850276
.long 0xE054D000, 0x80178806
.long 0x81858105
.long 0x805C565C
.long 0x825D575D
.long 0xBF008005
.long 0xBF850268
	;; [unrolled: 6-line block ×14, first 2 shown]
.long 0xE054D000, 0x8017F006
.long 0xBF8C0F7E
.long 0xD3B24010, 0x18030110
.long 0x81858105
.long 0xBF05CE05
.long 0xBF850217
.long 0x805C565C
.long 0x825D575D
.long 0xD0C60058, 0x00000A80
.long 0xD1000018, 0x01621706
.long 0xE054D000, 0x80178018
.long 0xBF8C0F7E
.long 0xD3B24010, 0x18031110
.long 0x81858105
.long 0xBF05CE05
.long 0xBF850209
.long 0x805C565C
.long 0x825D575D
.long 0xD0C60058, 0x00000A80
.long 0xD1000018, 0x01621706
	;; [unrolled: 10-line block ×15, first 2 shown]
.long 0xE054D000, 0x8017F018
.long 0xBF02CE05
.long 0xBF85FF2C
	;; [unrolled: 1-line block ×3, first 2 shown]
.long 0xD3B24010, 0x18030110
.long 0xBF8C0F7C
.long 0xD3B24010, 0x18031110
.long 0xBF8C0F7B
.long 0xD3B24010, 0x18032110
.long 0xBF8C0F7A
.long 0xD3B24010, 0x18033110
.long 0xBF8C0F79
.long 0xD3B24010, 0x18034110
.long 0xBF8C0F78
.long 0xD3B24010, 0x18035110
.long 0xBF8C0F77
.long 0xD3B24010, 0x18036110
.long 0xBF8C0F76
.long 0xD3B24010, 0x18037110
.long 0xBF8C0F75
.long 0xD3B24010, 0x18038110
.long 0xBF8C0F74
.long 0xD3B24010, 0x18039110
.long 0xBF8C0F73
.long 0xD3B24010, 0x1803A110
.long 0xBF8C0F72
.long 0xD3B24010, 0x1803B110
.long 0xBF8C0F71
.long 0xD3B24010, 0x1803C110
.long 0xBF8C0F70
.long 0xD3B24010, 0x1803D110
.long 0xBF82011E
.long 0xBF8C0F7C
.long 0xD3B24010, 0x18030110
.long 0xBF8C0F7B
.long 0xD3B24010, 0x18031110
	;; [unrolled: 2-line block ×13, first 2 shown]
.long 0xBF8200F6
.long 0xBF8C0F7B
.long 0xD3B24010, 0x18030110
.long 0xBF8C0F7A
.long 0xD3B24010, 0x18031110
	;; [unrolled: 2-line block ×12, first 2 shown]
.long 0xBF8200D1
.long 0xBF8C0F7A
.long 0xD3B24010, 0x18030110
.long 0xBF8C0F79
.long 0xD3B24010, 0x18031110
	;; [unrolled: 2-line block ×11, first 2 shown]
.long 0xBF8200AF
.long 0xBF8C0F79
.long 0xD3B24010, 0x18030110
.long 0xBF8C0F78
.long 0xD3B24010, 0x18031110
	;; [unrolled: 2-line block ×10, first 2 shown]
.long 0xBF820090
.long 0xBF8C0F78
.long 0xD3B24010, 0x18030110
.long 0xBF8C0F77
.long 0xD3B24010, 0x18031110
	;; [unrolled: 2-line block ×9, first 2 shown]
.long 0xBF820074
.long 0xBF8C0F77
.long 0xD3B24010, 0x18030110
.long 0xBF8C0F76
.long 0xD3B24010, 0x18031110
	;; [unrolled: 2-line block ×8, first 2 shown]
.long 0xBF82005B
.long 0xBF8C0F76
.long 0xD3B24010, 0x18030110
.long 0xBF8C0F75
.long 0xD3B24010, 0x18031110
	;; [unrolled: 2-line block ×7, first 2 shown]
.long 0xBF820045
.long 0xBF8C0F75
.long 0xD3B24010, 0x18030110
.long 0xBF8C0F74
.long 0xD3B24010, 0x18031110
	;; [unrolled: 2-line block ×6, first 2 shown]
.long 0xBF820032
.long 0xBF8C0F74
.long 0xD3B24010, 0x18030110
.long 0xBF8C0F73
.long 0xD3B24010, 0x18031110
	;; [unrolled: 2-line block ×5, first 2 shown]
.long 0xBF820022
.long 0xBF8C0F73
.long 0xD3B24010, 0x18030110
.long 0xBF8C0F72
.long 0xD3B24010, 0x18031110
	;; [unrolled: 2-line block ×4, first 2 shown]
.long 0xBF820015
.long 0xBF8C0F72
.long 0xD3B24010, 0x18030110
.long 0xBF8C0F71
.long 0xD3B24010, 0x18031110
	;; [unrolled: 2-line block ×3, first 2 shown]
.long 0xBF82000B
.long 0xBF8C0F71
.long 0xD3B24010, 0x18030110
.long 0xBF8C0F70
.long 0xD3B24010, 0x18031110
.long 0xBF820004
.long 0xBF8C0F70
.long 0xD3B24010, 0x18030110
.long 0xBF820000
.long 0x7E1602FF, 0x80000000
.long 0xBEDC0016
.long 0xBEDD0017
	;; [unrolled: 1-line block ×9, first 2 shown]
.long 0xE054D000, 0x80171206
.long 0xBE850032
.long 0x81858105
	;; [unrolled: 1-line block ×6, first 2 shown]
.long 0xE054D000, 0x80178006
.long 0x81858105
.long 0x805C565C
.long 0x825D575D
.long 0xBF008005
.long 0xBF850276
.long 0xE054D000, 0x80178806
.long 0x81858105
.long 0x805C565C
.long 0x825D575D
.long 0xBF008005
.long 0xBF850268
	;; [unrolled: 6-line block ×14, first 2 shown]
.long 0xE054D000, 0x8017F006
.long 0xBF8C0F7E
.long 0xD3B24012, 0x18030112
.long 0x81858105
.long 0xBF05CE05
.long 0xBF850217
.long 0x805C565C
.long 0x825D575D
.long 0xD0C60058, 0x00000A80
.long 0xD1000018, 0x01621706
.long 0xE054D000, 0x80178018
.long 0xBF8C0F7E
.long 0xD3B24012, 0x18031112
.long 0x81858105
.long 0xBF05CE05
.long 0xBF850209
.long 0x805C565C
.long 0x825D575D
.long 0xD0C60058, 0x00000A80
.long 0xD1000018, 0x01621706
	;; [unrolled: 10-line block ×15, first 2 shown]
.long 0xE054D000, 0x8017F018
.long 0xBF02CE05
.long 0xBF85FF2C
	;; [unrolled: 1-line block ×3, first 2 shown]
.long 0xD3B24012, 0x18030112
.long 0xBF8C0F7C
.long 0xD3B24012, 0x18031112
.long 0xBF8C0F7B
	;; [unrolled: 2-line block ×14, first 2 shown]
.long 0xBF8C0F7C
.long 0xD3B24012, 0x18030112
.long 0xBF8C0F7B
.long 0xD3B24012, 0x18031112
	;; [unrolled: 2-line block ×13, first 2 shown]
.long 0xBF8200F6
.long 0xBF8C0F7B
.long 0xD3B24012, 0x18030112
.long 0xBF8C0F7A
.long 0xD3B24012, 0x18031112
	;; [unrolled: 2-line block ×12, first 2 shown]
.long 0xBF8200D1
.long 0xBF8C0F7A
.long 0xD3B24012, 0x18030112
.long 0xBF8C0F79
.long 0xD3B24012, 0x18031112
	;; [unrolled: 2-line block ×11, first 2 shown]
.long 0xBF8200AF
.long 0xBF8C0F79
.long 0xD3B24012, 0x18030112
.long 0xBF8C0F78
.long 0xD3B24012, 0x18031112
	;; [unrolled: 2-line block ×10, first 2 shown]
.long 0xBF820090
.long 0xBF8C0F78
.long 0xD3B24012, 0x18030112
.long 0xBF8C0F77
.long 0xD3B24012, 0x18031112
	;; [unrolled: 2-line block ×9, first 2 shown]
.long 0xBF820074
.long 0xBF8C0F77
.long 0xD3B24012, 0x18030112
.long 0xBF8C0F76
.long 0xD3B24012, 0x18031112
	;; [unrolled: 2-line block ×8, first 2 shown]
.long 0xBF82005B
.long 0xBF8C0F76
.long 0xD3B24012, 0x18030112
.long 0xBF8C0F75
.long 0xD3B24012, 0x18031112
	;; [unrolled: 2-line block ×7, first 2 shown]
.long 0xBF820045
.long 0xBF8C0F75
.long 0xD3B24012, 0x18030112
.long 0xBF8C0F74
.long 0xD3B24012, 0x18031112
	;; [unrolled: 2-line block ×6, first 2 shown]
.long 0xBF820032
.long 0xBF8C0F74
.long 0xD3B24012, 0x18030112
.long 0xBF8C0F73
.long 0xD3B24012, 0x18031112
	;; [unrolled: 2-line block ×5, first 2 shown]
.long 0xBF820022
.long 0xBF8C0F73
.long 0xD3B24012, 0x18030112
.long 0xBF8C0F72
.long 0xD3B24012, 0x18031112
	;; [unrolled: 2-line block ×4, first 2 shown]
.long 0xBF820015
.long 0xBF8C0F72
.long 0xD3B24012, 0x18030112
.long 0xBF8C0F71
.long 0xD3B24012, 0x18031112
	;; [unrolled: 2-line block ×3, first 2 shown]
.long 0xBF82000B
.long 0xBF8C0F71
.long 0xD3B24012, 0x18030112
.long 0xBF8C0F70
.long 0xD3B24012, 0x18031112
.long 0xBF820004
.long 0xBF8C0F70
.long 0xD3B24012, 0x18030112
.long 0xBF820000
.long 0x7E1602FF, 0x80000000
.long 0xBEDC0016
.long 0xBEDD0017
	;; [unrolled: 1-line block ×9, first 2 shown]
.long 0xE054D000, 0x80171406
.long 0xBE850032
.long 0x81858105
	;; [unrolled: 1-line block ×6, first 2 shown]
.long 0xE054D000, 0x80178006
.long 0x81858105
.long 0x805C565C
.long 0x825D575D
.long 0xBF008005
.long 0xBF850276
.long 0xE054D000, 0x80178806
.long 0x81858105
.long 0x805C565C
.long 0x825D575D
.long 0xBF008005
.long 0xBF850268
.long 0xE054D000, 0x80179006
.long 0x81858105
.long 0x805C565C
.long 0x825D575D
.long 0xBF008005
.long 0xBF850257
.long 0xE054D000, 0x80179806
.long 0x81858105
.long 0x805C565C
.long 0x825D575D
.long 0xBF008005
.long 0xBF850243
.long 0xE054D000, 0x8017A006
.long 0x81858105
.long 0x805C565C
.long 0x825D575D
.long 0xBF008005
.long 0xBF85022C
.long 0xE054D000, 0x8017A806
.long 0x81858105
.long 0x805C565C
.long 0x825D575D
.long 0xBF008005
.long 0xBF850212
.long 0xE054D000, 0x8017B006
.long 0x81858105
.long 0x805C565C
.long 0x825D575D
.long 0xBF008005
.long 0xBF8501F5
.long 0xE054D000, 0x8017B806
.long 0x81858105
.long 0x805C565C
.long 0x825D575D
.long 0xBF008005
.long 0xBF8501D5
.long 0xE054D000, 0x8017C006
.long 0x81858105
.long 0x805C565C
.long 0x825D575D
.long 0xBF008005
.long 0xBF8501B2
.long 0xE054D000, 0x8017C806
.long 0x81858105
.long 0x805C565C
.long 0x825D575D
.long 0xBF008005
.long 0xBF85018C
.long 0xE054D000, 0x8017D006
.long 0x81858105
.long 0x805C565C
.long 0x825D575D
.long 0xBF008005
.long 0xBF850163
.long 0xE054D000, 0x8017D806
.long 0x81858105
.long 0x805C565C
.long 0x825D575D
.long 0xBF008005
.long 0xBF850137
.long 0xE054D000, 0x8017E006
.long 0x81858105
.long 0x805C565C
.long 0x825D575D
.long 0xBF008005
.long 0xBF850108
.long 0xE054D000, 0x8017E806
.long 0x81858105
.long 0x805C565C
.long 0x825D575D
.long 0xBF008005
.long 0xBF8500D6
.long 0xE054D000, 0x8017F006
.long 0xBF8C0F7E
.long 0xD3B24014, 0x18030114
.long 0x81858105
.long 0xBF05CE05
.long 0xBF850217
.long 0x805C565C
.long 0x825D575D
.long 0xD0C60058, 0x00000A80
.long 0xD1000018, 0x01621706
.long 0xE054D000, 0x80178018
.long 0xBF8C0F7E
.long 0xD3B24014, 0x18031114
.long 0x81858105
.long 0xBF05CE05
.long 0xBF850209
.long 0x805C565C
.long 0x825D575D
.long 0xD0C60058, 0x00000A80
.long 0xD1000018, 0x01621706
	;; [unrolled: 10-line block ×15, first 2 shown]
.long 0xE054D000, 0x8017F018
.long 0xBF02CE05
.long 0xBF85FF2C
	;; [unrolled: 1-line block ×3, first 2 shown]
.long 0xD3B24014, 0x18030114
.long 0xBF8C0F7C
.long 0xD3B24014, 0x18031114
.long 0xBF8C0F7B
	;; [unrolled: 2-line block ×14, first 2 shown]
.long 0xBF8C0F7C
.long 0xD3B24014, 0x18030114
.long 0xBF8C0F7B
.long 0xD3B24014, 0x18031114
	;; [unrolled: 2-line block ×13, first 2 shown]
.long 0xBF8200F6
.long 0xBF8C0F7B
.long 0xD3B24014, 0x18030114
.long 0xBF8C0F7A
.long 0xD3B24014, 0x18031114
	;; [unrolled: 2-line block ×12, first 2 shown]
.long 0xBF8200D1
.long 0xBF8C0F7A
.long 0xD3B24014, 0x18030114
.long 0xBF8C0F79
.long 0xD3B24014, 0x18031114
	;; [unrolled: 2-line block ×11, first 2 shown]
.long 0xBF8200AF
.long 0xBF8C0F79
.long 0xD3B24014, 0x18030114
.long 0xBF8C0F78
.long 0xD3B24014, 0x18031114
	;; [unrolled: 2-line block ×10, first 2 shown]
.long 0xBF820090
.long 0xBF8C0F78
.long 0xD3B24014, 0x18030114
.long 0xBF8C0F77
.long 0xD3B24014, 0x18031114
	;; [unrolled: 2-line block ×9, first 2 shown]
.long 0xBF820074
.long 0xBF8C0F77
.long 0xD3B24014, 0x18030114
.long 0xBF8C0F76
.long 0xD3B24014, 0x18031114
	;; [unrolled: 2-line block ×8, first 2 shown]
.long 0xBF82005B
.long 0xBF8C0F76
.long 0xD3B24014, 0x18030114
.long 0xBF8C0F75
.long 0xD3B24014, 0x18031114
	;; [unrolled: 2-line block ×7, first 2 shown]
.long 0xBF820045
.long 0xBF8C0F75
.long 0xD3B24014, 0x18030114
.long 0xBF8C0F74
.long 0xD3B24014, 0x18031114
.long 0xBF8C0F73
.long 0xD3B24014, 0x18032114
.long 0xBF8C0F72
.long 0xD3B24014, 0x18033114
.long 0xBF8C0F71
.long 0xD3B24014, 0x18034114
.long 0xBF8C0F70
.long 0xD3B24014, 0x18035114
.long 0xBF820032
.long 0xBF8C0F74
.long 0xD3B24014, 0x18030114
.long 0xBF8C0F73
.long 0xD3B24014, 0x18031114
	;; [unrolled: 2-line block ×5, first 2 shown]
.long 0xBF820022
.long 0xBF8C0F73
.long 0xD3B24014, 0x18030114
.long 0xBF8C0F72
.long 0xD3B24014, 0x18031114
	;; [unrolled: 2-line block ×4, first 2 shown]
.long 0xBF820015
.long 0xBF8C0F72
.long 0xD3B24014, 0x18030114
.long 0xBF8C0F71
.long 0xD3B24014, 0x18031114
	;; [unrolled: 2-line block ×3, first 2 shown]
.long 0xBF82000B
.long 0xBF8C0F71
.long 0xD3B24014, 0x18030114
.long 0xBF8C0F70
.long 0xD3B24014, 0x18031114
.long 0xBF820004
.long 0xBF8C0F70
.long 0xD3B24014, 0x18030114
.long 0xBF820000
.long 0x7E1602FF, 0x80000000
.long 0xBEDC0016
.long 0xBEDD0017
	;; [unrolled: 1-line block ×9, first 2 shown]
.long 0xE054D000, 0x80171606
.long 0xBE850032
.long 0x81858105
	;; [unrolled: 1-line block ×6, first 2 shown]
.long 0xE054D000, 0x80178006
.long 0x81858105
.long 0x805C565C
.long 0x825D575D
.long 0xBF008005
.long 0xBF850276
.long 0xE054D000, 0x80178806
.long 0x81858105
.long 0x805C565C
.long 0x825D575D
.long 0xBF008005
.long 0xBF850268
	;; [unrolled: 6-line block ×14, first 2 shown]
.long 0xE054D000, 0x8017F006
.long 0xBF8C0F7E
.long 0xD3B24016, 0x18030116
.long 0x81858105
.long 0xBF05CE05
.long 0xBF850217
.long 0x805C565C
.long 0x825D575D
.long 0xD0C60058, 0x00000A80
.long 0xD1000018, 0x01621706
.long 0xE054D000, 0x80178018
.long 0xBF8C0F7E
.long 0xD3B24016, 0x18031116
.long 0x81858105
.long 0xBF05CE05
.long 0xBF850209
.long 0x805C565C
.long 0x825D575D
.long 0xD0C60058, 0x00000A80
.long 0xD1000018, 0x01621706
	;; [unrolled: 10-line block ×15, first 2 shown]
.long 0xE054D000, 0x8017F018
.long 0xBF02CE05
.long 0xBF85FF2C
	;; [unrolled: 1-line block ×3, first 2 shown]
.long 0xD3B24016, 0x18030116
.long 0xBF8C0F7C
.long 0xD3B24016, 0x18031116
.long 0xBF8C0F7B
	;; [unrolled: 2-line block ×14, first 2 shown]
.long 0xBF8C0F7C
.long 0xD3B24016, 0x18030116
.long 0xBF8C0F7B
.long 0xD3B24016, 0x18031116
	;; [unrolled: 2-line block ×13, first 2 shown]
.long 0xBF8200F6
.long 0xBF8C0F7B
.long 0xD3B24016, 0x18030116
.long 0xBF8C0F7A
.long 0xD3B24016, 0x18031116
	;; [unrolled: 2-line block ×12, first 2 shown]
.long 0xBF8200D1
.long 0xBF8C0F7A
.long 0xD3B24016, 0x18030116
.long 0xBF8C0F79
.long 0xD3B24016, 0x18031116
	;; [unrolled: 2-line block ×11, first 2 shown]
.long 0xBF8200AF
.long 0xBF8C0F79
.long 0xD3B24016, 0x18030116
.long 0xBF8C0F78
.long 0xD3B24016, 0x18031116
	;; [unrolled: 2-line block ×10, first 2 shown]
.long 0xBF820090
.long 0xBF8C0F78
.long 0xD3B24016, 0x18030116
.long 0xBF8C0F77
.long 0xD3B24016, 0x18031116
.long 0xBF8C0F76
.long 0xD3B24016, 0x18032116
.long 0xBF8C0F75
.long 0xD3B24016, 0x18033116
.long 0xBF8C0F74
.long 0xD3B24016, 0x18034116
.long 0xBF8C0F73
.long 0xD3B24016, 0x18035116
.long 0xBF8C0F72
.long 0xD3B24016, 0x18036116
.long 0xBF8C0F71
.long 0xD3B24016, 0x18037116
.long 0xBF8C0F70
.long 0xD3B24016, 0x18038116
.long 0xBF820074
.long 0xBF8C0F77
.long 0xD3B24016, 0x18030116
.long 0xBF8C0F76
.long 0xD3B24016, 0x18031116
	;; [unrolled: 2-line block ×8, first 2 shown]
.long 0xBF82005B
.long 0xBF8C0F76
.long 0xD3B24016, 0x18030116
.long 0xBF8C0F75
.long 0xD3B24016, 0x18031116
	;; [unrolled: 2-line block ×7, first 2 shown]
.long 0xBF820045
.long 0xBF8C0F75
.long 0xD3B24016, 0x18030116
.long 0xBF8C0F74
.long 0xD3B24016, 0x18031116
	;; [unrolled: 2-line block ×6, first 2 shown]
.long 0xBF820032
.long 0xBF8C0F74
.long 0xD3B24016, 0x18030116
.long 0xBF8C0F73
.long 0xD3B24016, 0x18031116
	;; [unrolled: 2-line block ×5, first 2 shown]
.long 0xBF820022
.long 0xBF8C0F73
.long 0xD3B24016, 0x18030116
.long 0xBF8C0F72
.long 0xD3B24016, 0x18031116
	;; [unrolled: 2-line block ×4, first 2 shown]
.long 0xBF820015
.long 0xBF8C0F72
.long 0xD3B24016, 0x18030116
.long 0xBF8C0F71
.long 0xD3B24016, 0x18031116
	;; [unrolled: 2-line block ×3, first 2 shown]
.long 0xBF82000B
.long 0xBF8C0F71
.long 0xD3B24016, 0x18030116
.long 0xBF8C0F70
.long 0xD3B24016, 0x18031116
.long 0xBF820004
.long 0xBF8C0F70
.long 0xD3B24016, 0x18030116
.long 0xBF820000
.long 0x0A202030
	;; [unrolled: 1-line block ×9, first 2 shown]
.long 0xD0CC0038, 0x0001004A
.long 0xD100000E, 0x00E21CF2
	;; [unrolled: 1-line block ×7, first 2 shown]
.long 0x7E201510
.long 0x7E221511
.long 0xD2A00010, 0x00022310
.long 0xE070D000, 0x80141007
.long 0xBF800000
.long 0xD0CC0038, 0x0001004A
.long 0xD100000E, 0x00E21CF2
.long 0xD100000F, 0x00E21EF2
.long 0xD3B14012, 0x1802250E
.long 0xD3B24012, 0x1802250C
.long 0xD10B0012, 0x00010112
.long 0xD10B0013, 0x00010113
.long 0x7E241512
.long 0x7E261513
.long 0xD2A00012, 0x00022712
.long 0x8E428128
.long 0x80504250
.long 0x82518051
.long 0xE070D000, 0x80141207
.long 0xBF800000
.long 0xD0CC0038, 0x0001004A
.long 0xD100000E, 0x00E21CF2
.long 0xD100000F, 0x00E21EF2
.long 0xD3B14014, 0x1802290E
.long 0xD3B24014, 0x1802290C
.long 0xD10B0014, 0x00010114
.long 0xD10B0015, 0x00010115
.long 0x7E281514
.long 0x7E2A1515
.long 0xD2A00014, 0x00022B14
.long 0x8E428128
.long 0x80504250
.long 0x82518051
	;; [unrolled: 15-line block ×3, first 2 shown]
.long 0xE070D000, 0x80141607
.long 0xBF800000
.long 0xBF800000
	;; [unrolled: 1-line block ×3, first 2 shown]
.long 0x924202FF, 0x00000080
.long 0xD1350009, 0x00008500
.long 0x24121282
.long 0xBF8CC07F
	;; [unrolled: 1-line block ×3, first 2 shown]
.long 0xD8EC0000, 0x0C000009
.long 0x24140082
.long 0xE0541000, 0x80120E0A
.long 0xD1FE0006, 0x020A0103
	;; [unrolled: 1-line block ×11, first 2 shown]
.long 0xBF800001
.long 0xE074D000, 0x80031006
.long 0x8E428228
.long 0x800C420C
.long 0x820D800D
.long 0xE074D000, 0x80031206
.long 0x8E428228
.long 0x800C420C
	;; [unrolled: 4-line block ×4, first 2 shown]
.long 0x92330454
.long 0x92411403
	;; [unrolled: 1-line block ×14, first 2 shown]
.long 0xC2330CCC, 0x00000000
.long 0x965B811C
.long 0x925A811C
	;; [unrolled: 1-line block ×15, first 2 shown]
.long 0x7E1602FF, 0x80000000
.long 0xBEDC0016
.long 0xBEDD0017
	;; [unrolled: 1-line block ×7, first 2 shown]
.long 0xE054D000, 0x80171006
.long 0xBE850032
.long 0x81858105
	;; [unrolled: 1-line block ×6, first 2 shown]
.long 0xE054D000, 0x80178006
.long 0x81858105
.long 0x805C565C
.long 0x825D575D
.long 0xBF008005
.long 0xBF850276
.long 0xE054D000, 0x80178806
.long 0x81858105
.long 0x805C565C
.long 0x825D575D
.long 0xBF008005
.long 0xBF850268
	;; [unrolled: 6-line block ×14, first 2 shown]
.long 0xE054D000, 0x8017F006
.long 0xBF8C0F7E
.long 0xD3B24010, 0x18030110
.long 0x81858105
.long 0xBF05CE05
.long 0xBF850217
.long 0x805C565C
.long 0x825D575D
.long 0xD0C60058, 0x00000A80
.long 0xD1000018, 0x01621706
.long 0xE054D000, 0x80178018
.long 0xBF8C0F7E
.long 0xD3B24010, 0x18031110
.long 0x81858105
.long 0xBF05CE05
.long 0xBF850209
.long 0x805C565C
.long 0x825D575D
.long 0xD0C60058, 0x00000A80
.long 0xD1000018, 0x01621706
	;; [unrolled: 10-line block ×15, first 2 shown]
.long 0xE054D000, 0x8017F018
.long 0xBF02CE05
.long 0xBF85FF2C
	;; [unrolled: 1-line block ×3, first 2 shown]
.long 0xD3B24010, 0x18030110
.long 0xBF8C0F7C
.long 0xD3B24010, 0x18031110
.long 0xBF8C0F7B
	;; [unrolled: 2-line block ×14, first 2 shown]
.long 0xBF8C0F7C
.long 0xD3B24010, 0x18030110
.long 0xBF8C0F7B
.long 0xD3B24010, 0x18031110
	;; [unrolled: 2-line block ×13, first 2 shown]
.long 0xBF8200F6
.long 0xBF8C0F7B
.long 0xD3B24010, 0x18030110
.long 0xBF8C0F7A
.long 0xD3B24010, 0x18031110
	;; [unrolled: 2-line block ×12, first 2 shown]
.long 0xBF8200D1
.long 0xBF8C0F7A
.long 0xD3B24010, 0x18030110
.long 0xBF8C0F79
.long 0xD3B24010, 0x18031110
.long 0xBF8C0F78
.long 0xD3B24010, 0x18032110
.long 0xBF8C0F77
.long 0xD3B24010, 0x18033110
.long 0xBF8C0F76
.long 0xD3B24010, 0x18034110
.long 0xBF8C0F75
.long 0xD3B24010, 0x18035110
.long 0xBF8C0F74
.long 0xD3B24010, 0x18036110
.long 0xBF8C0F73
.long 0xD3B24010, 0x18037110
.long 0xBF8C0F72
.long 0xD3B24010, 0x18038110
.long 0xBF8C0F71
.long 0xD3B24010, 0x18039110
.long 0xBF8C0F70
.long 0xD3B24010, 0x1803A110
.long 0xBF8200AF
.long 0xBF8C0F79
.long 0xD3B24010, 0x18030110
.long 0xBF8C0F78
.long 0xD3B24010, 0x18031110
	;; [unrolled: 2-line block ×10, first 2 shown]
.long 0xBF820090
.long 0xBF8C0F78
.long 0xD3B24010, 0x18030110
.long 0xBF8C0F77
.long 0xD3B24010, 0x18031110
	;; [unrolled: 2-line block ×9, first 2 shown]
.long 0xBF820074
.long 0xBF8C0F77
.long 0xD3B24010, 0x18030110
.long 0xBF8C0F76
.long 0xD3B24010, 0x18031110
	;; [unrolled: 2-line block ×8, first 2 shown]
.long 0xBF82005B
.long 0xBF8C0F76
.long 0xD3B24010, 0x18030110
.long 0xBF8C0F75
.long 0xD3B24010, 0x18031110
	;; [unrolled: 2-line block ×7, first 2 shown]
.long 0xBF820045
.long 0xBF8C0F75
.long 0xD3B24010, 0x18030110
.long 0xBF8C0F74
.long 0xD3B24010, 0x18031110
	;; [unrolled: 2-line block ×6, first 2 shown]
.long 0xBF820032
.long 0xBF8C0F74
.long 0xD3B24010, 0x18030110
.long 0xBF8C0F73
.long 0xD3B24010, 0x18031110
	;; [unrolled: 2-line block ×5, first 2 shown]
.long 0xBF820022
.long 0xBF8C0F73
.long 0xD3B24010, 0x18030110
.long 0xBF8C0F72
.long 0xD3B24010, 0x18031110
	;; [unrolled: 2-line block ×4, first 2 shown]
.long 0xBF820015
.long 0xBF8C0F72
.long 0xD3B24010, 0x18030110
.long 0xBF8C0F71
.long 0xD3B24010, 0x18031110
	;; [unrolled: 2-line block ×3, first 2 shown]
.long 0xBF82000B
.long 0xBF8C0F71
.long 0xD3B24010, 0x18030110
.long 0xBF8C0F70
.long 0xD3B24010, 0x18031110
.long 0xBF820004
.long 0xBF8C0F70
.long 0xD3B24010, 0x18030110
.long 0xBF820000
.long 0x7E1602FF, 0x80000000
.long 0xBEDC0016
.long 0xBEDD0017
	;; [unrolled: 1-line block ×9, first 2 shown]
.long 0xE054D000, 0x80171206
.long 0xBE850032
.long 0x81858105
	;; [unrolled: 1-line block ×6, first 2 shown]
.long 0xE054D000, 0x80178006
.long 0x81858105
.long 0x805C565C
.long 0x825D575D
.long 0xBF008005
.long 0xBF850276
.long 0xE054D000, 0x80178806
.long 0x81858105
.long 0x805C565C
.long 0x825D575D
.long 0xBF008005
.long 0xBF850268
	;; [unrolled: 6-line block ×14, first 2 shown]
.long 0xE054D000, 0x8017F006
.long 0xBF8C0F7E
.long 0xD3B24012, 0x18030112
.long 0x81858105
.long 0xBF05CE05
.long 0xBF850217
.long 0x805C565C
.long 0x825D575D
.long 0xD0C60058, 0x00000A80
.long 0xD1000018, 0x01621706
.long 0xE054D000, 0x80178018
.long 0xBF8C0F7E
.long 0xD3B24012, 0x18031112
.long 0x81858105
.long 0xBF05CE05
.long 0xBF850209
.long 0x805C565C
.long 0x825D575D
.long 0xD0C60058, 0x00000A80
.long 0xD1000018, 0x01621706
	;; [unrolled: 10-line block ×15, first 2 shown]
.long 0xE054D000, 0x8017F018
.long 0xBF02CE05
.long 0xBF85FF2C
	;; [unrolled: 1-line block ×3, first 2 shown]
.long 0xD3B24012, 0x18030112
.long 0xBF8C0F7C
.long 0xD3B24012, 0x18031112
.long 0xBF8C0F7B
.long 0xD3B24012, 0x18032112
.long 0xBF8C0F7A
.long 0xD3B24012, 0x18033112
.long 0xBF8C0F79
.long 0xD3B24012, 0x18034112
.long 0xBF8C0F78
.long 0xD3B24012, 0x18035112
.long 0xBF8C0F77
.long 0xD3B24012, 0x18036112
.long 0xBF8C0F76
.long 0xD3B24012, 0x18037112
.long 0xBF8C0F75
.long 0xD3B24012, 0x18038112
.long 0xBF8C0F74
.long 0xD3B24012, 0x18039112
.long 0xBF8C0F73
.long 0xD3B24012, 0x1803A112
.long 0xBF8C0F72
.long 0xD3B24012, 0x1803B112
.long 0xBF8C0F71
.long 0xD3B24012, 0x1803C112
.long 0xBF8C0F70
.long 0xD3B24012, 0x1803D112
.long 0xBF82011E
.long 0xBF8C0F7C
.long 0xD3B24012, 0x18030112
.long 0xBF8C0F7B
.long 0xD3B24012, 0x18031112
	;; [unrolled: 2-line block ×13, first 2 shown]
.long 0xBF8200F6
.long 0xBF8C0F7B
.long 0xD3B24012, 0x18030112
.long 0xBF8C0F7A
.long 0xD3B24012, 0x18031112
	;; [unrolled: 2-line block ×12, first 2 shown]
.long 0xBF8200D1
.long 0xBF8C0F7A
.long 0xD3B24012, 0x18030112
.long 0xBF8C0F79
.long 0xD3B24012, 0x18031112
	;; [unrolled: 2-line block ×11, first 2 shown]
.long 0xBF8200AF
.long 0xBF8C0F79
.long 0xD3B24012, 0x18030112
.long 0xBF8C0F78
.long 0xD3B24012, 0x18031112
	;; [unrolled: 2-line block ×10, first 2 shown]
.long 0xBF820090
.long 0xBF8C0F78
.long 0xD3B24012, 0x18030112
.long 0xBF8C0F77
.long 0xD3B24012, 0x18031112
	;; [unrolled: 2-line block ×9, first 2 shown]
.long 0xBF820074
.long 0xBF8C0F77
.long 0xD3B24012, 0x18030112
.long 0xBF8C0F76
.long 0xD3B24012, 0x18031112
	;; [unrolled: 2-line block ×8, first 2 shown]
.long 0xBF82005B
.long 0xBF8C0F76
.long 0xD3B24012, 0x18030112
.long 0xBF8C0F75
.long 0xD3B24012, 0x18031112
	;; [unrolled: 2-line block ×7, first 2 shown]
.long 0xBF820045
.long 0xBF8C0F75
.long 0xD3B24012, 0x18030112
.long 0xBF8C0F74
.long 0xD3B24012, 0x18031112
	;; [unrolled: 2-line block ×6, first 2 shown]
.long 0xBF820032
.long 0xBF8C0F74
.long 0xD3B24012, 0x18030112
.long 0xBF8C0F73
.long 0xD3B24012, 0x18031112
	;; [unrolled: 2-line block ×5, first 2 shown]
.long 0xBF820022
.long 0xBF8C0F73
.long 0xD3B24012, 0x18030112
.long 0xBF8C0F72
.long 0xD3B24012, 0x18031112
	;; [unrolled: 2-line block ×4, first 2 shown]
.long 0xBF820015
.long 0xBF8C0F72
.long 0xD3B24012, 0x18030112
.long 0xBF8C0F71
.long 0xD3B24012, 0x18031112
	;; [unrolled: 2-line block ×3, first 2 shown]
.long 0xBF82000B
.long 0xBF8C0F71
.long 0xD3B24012, 0x18030112
.long 0xBF8C0F70
.long 0xD3B24012, 0x18031112
.long 0xBF820004
.long 0xBF8C0F70
.long 0xD3B24012, 0x18030112
.long 0xBF820000
.long 0x7E1602FF, 0x80000000
.long 0xBEDC0016
.long 0xBEDD0017
	;; [unrolled: 1-line block ×9, first 2 shown]
.long 0xE054D000, 0x80171406
.long 0xBE850032
.long 0x81858105
	;; [unrolled: 1-line block ×6, first 2 shown]
.long 0xE054D000, 0x80178006
.long 0x81858105
.long 0x805C565C
.long 0x825D575D
.long 0xBF008005
.long 0xBF850276
.long 0xE054D000, 0x80178806
.long 0x81858105
.long 0x805C565C
.long 0x825D575D
.long 0xBF008005
.long 0xBF850268
.long 0xE054D000, 0x80179006
.long 0x81858105
.long 0x805C565C
.long 0x825D575D
.long 0xBF008005
.long 0xBF850257
.long 0xE054D000, 0x80179806
.long 0x81858105
.long 0x805C565C
.long 0x825D575D
.long 0xBF008005
.long 0xBF850243
.long 0xE054D000, 0x8017A006
.long 0x81858105
.long 0x805C565C
.long 0x825D575D
.long 0xBF008005
.long 0xBF85022C
.long 0xE054D000, 0x8017A806
.long 0x81858105
.long 0x805C565C
.long 0x825D575D
.long 0xBF008005
.long 0xBF850212
.long 0xE054D000, 0x8017B006
.long 0x81858105
.long 0x805C565C
.long 0x825D575D
.long 0xBF008005
.long 0xBF8501F5
.long 0xE054D000, 0x8017B806
.long 0x81858105
.long 0x805C565C
.long 0x825D575D
.long 0xBF008005
.long 0xBF8501D5
.long 0xE054D000, 0x8017C006
.long 0x81858105
.long 0x805C565C
.long 0x825D575D
.long 0xBF008005
.long 0xBF8501B2
.long 0xE054D000, 0x8017C806
.long 0x81858105
.long 0x805C565C
.long 0x825D575D
.long 0xBF008005
.long 0xBF85018C
.long 0xE054D000, 0x8017D006
.long 0x81858105
.long 0x805C565C
.long 0x825D575D
.long 0xBF008005
.long 0xBF850163
.long 0xE054D000, 0x8017D806
.long 0x81858105
.long 0x805C565C
.long 0x825D575D
.long 0xBF008005
.long 0xBF850137
.long 0xE054D000, 0x8017E006
.long 0x81858105
.long 0x805C565C
.long 0x825D575D
.long 0xBF008005
.long 0xBF850108
.long 0xE054D000, 0x8017E806
.long 0x81858105
.long 0x805C565C
.long 0x825D575D
.long 0xBF008005
.long 0xBF8500D6
.long 0xE054D000, 0x8017F006
.long 0xBF8C0F7E
.long 0xD3B24014, 0x18030114
.long 0x81858105
.long 0xBF05CE05
.long 0xBF850217
.long 0x805C565C
.long 0x825D575D
.long 0xD0C60058, 0x00000A80
.long 0xD1000018, 0x01621706
.long 0xE054D000, 0x80178018
.long 0xBF8C0F7E
.long 0xD3B24014, 0x18031114
.long 0x81858105
.long 0xBF05CE05
.long 0xBF850209
.long 0x805C565C
.long 0x825D575D
.long 0xD0C60058, 0x00000A80
.long 0xD1000018, 0x01621706
	;; [unrolled: 10-line block ×15, first 2 shown]
.long 0xE054D000, 0x8017F018
.long 0xBF02CE05
.long 0xBF85FF2C
	;; [unrolled: 1-line block ×3, first 2 shown]
.long 0xD3B24014, 0x18030114
.long 0xBF8C0F7C
.long 0xD3B24014, 0x18031114
.long 0xBF8C0F7B
	;; [unrolled: 2-line block ×14, first 2 shown]
.long 0xBF8C0F7C
.long 0xD3B24014, 0x18030114
.long 0xBF8C0F7B
.long 0xD3B24014, 0x18031114
	;; [unrolled: 2-line block ×13, first 2 shown]
.long 0xBF8200F6
.long 0xBF8C0F7B
.long 0xD3B24014, 0x18030114
.long 0xBF8C0F7A
.long 0xD3B24014, 0x18031114
	;; [unrolled: 2-line block ×12, first 2 shown]
.long 0xBF8200D1
.long 0xBF8C0F7A
.long 0xD3B24014, 0x18030114
.long 0xBF8C0F79
.long 0xD3B24014, 0x18031114
	;; [unrolled: 2-line block ×11, first 2 shown]
.long 0xBF8200AF
.long 0xBF8C0F79
.long 0xD3B24014, 0x18030114
.long 0xBF8C0F78
.long 0xD3B24014, 0x18031114
.long 0xBF8C0F77
.long 0xD3B24014, 0x18032114
.long 0xBF8C0F76
.long 0xD3B24014, 0x18033114
.long 0xBF8C0F75
.long 0xD3B24014, 0x18034114
.long 0xBF8C0F74
.long 0xD3B24014, 0x18035114
.long 0xBF8C0F73
.long 0xD3B24014, 0x18036114
.long 0xBF8C0F72
.long 0xD3B24014, 0x18037114
.long 0xBF8C0F71
.long 0xD3B24014, 0x18038114
.long 0xBF8C0F70
.long 0xD3B24014, 0x18039114
.long 0xBF820090
.long 0xBF8C0F78
.long 0xD3B24014, 0x18030114
.long 0xBF8C0F77
.long 0xD3B24014, 0x18031114
	;; [unrolled: 2-line block ×9, first 2 shown]
.long 0xBF820074
.long 0xBF8C0F77
.long 0xD3B24014, 0x18030114
.long 0xBF8C0F76
.long 0xD3B24014, 0x18031114
	;; [unrolled: 2-line block ×8, first 2 shown]
.long 0xBF82005B
.long 0xBF8C0F76
.long 0xD3B24014, 0x18030114
.long 0xBF8C0F75
.long 0xD3B24014, 0x18031114
.long 0xBF8C0F74
.long 0xD3B24014, 0x18032114
.long 0xBF8C0F73
.long 0xD3B24014, 0x18033114
.long 0xBF8C0F72
.long 0xD3B24014, 0x18034114
.long 0xBF8C0F71
.long 0xD3B24014, 0x18035114
.long 0xBF8C0F70
.long 0xD3B24014, 0x18036114
.long 0xBF820045
.long 0xBF8C0F75
.long 0xD3B24014, 0x18030114
.long 0xBF8C0F74
.long 0xD3B24014, 0x18031114
	;; [unrolled: 2-line block ×6, first 2 shown]
.long 0xBF820032
.long 0xBF8C0F74
.long 0xD3B24014, 0x18030114
.long 0xBF8C0F73
.long 0xD3B24014, 0x18031114
	;; [unrolled: 2-line block ×5, first 2 shown]
.long 0xBF820022
.long 0xBF8C0F73
.long 0xD3B24014, 0x18030114
.long 0xBF8C0F72
.long 0xD3B24014, 0x18031114
.long 0xBF8C0F71
.long 0xD3B24014, 0x18032114
.long 0xBF8C0F70
.long 0xD3B24014, 0x18033114
.long 0xBF820015
.long 0xBF8C0F72
.long 0xD3B24014, 0x18030114
.long 0xBF8C0F71
.long 0xD3B24014, 0x18031114
	;; [unrolled: 2-line block ×3, first 2 shown]
.long 0xBF82000B
.long 0xBF8C0F71
.long 0xD3B24014, 0x18030114
.long 0xBF8C0F70
.long 0xD3B24014, 0x18031114
.long 0xBF820004
.long 0xBF8C0F70
.long 0xD3B24014, 0x18030114
.long 0xBF820000
.long 0x7E1602FF, 0x80000000
.long 0xBEDC0016
.long 0xBEDD0017
	;; [unrolled: 1-line block ×9, first 2 shown]
.long 0xE054D000, 0x80171606
.long 0xBE850032
.long 0x81858105
.long 0x805C565C
.long 0x825D575D
.long 0xBF008005
.long 0xBF850281
.long 0xE054D000, 0x80178006
.long 0x81858105
.long 0x805C565C
.long 0x825D575D
.long 0xBF008005
.long 0xBF850276
.long 0xE054D000, 0x80178806
.long 0x81858105
.long 0x805C565C
.long 0x825D575D
.long 0xBF008005
.long 0xBF850268
	;; [unrolled: 6-line block ×14, first 2 shown]
.long 0xE054D000, 0x8017F006
.long 0xBF8C0F7E
.long 0xD3B24016, 0x18030116
.long 0x81858105
.long 0xBF05CE05
.long 0xBF850217
.long 0x805C565C
.long 0x825D575D
.long 0xD0C60058, 0x00000A80
.long 0xD1000018, 0x01621706
.long 0xE054D000, 0x80178018
.long 0xBF8C0F7E
.long 0xD3B24016, 0x18031116
.long 0x81858105
.long 0xBF05CE05
.long 0xBF850209
.long 0x805C565C
.long 0x825D575D
.long 0xD0C60058, 0x00000A80
.long 0xD1000018, 0x01621706
	;; [unrolled: 10-line block ×15, first 2 shown]
.long 0xE054D000, 0x8017F018
.long 0xBF02CE05
.long 0xBF85FF2C
	;; [unrolled: 1-line block ×3, first 2 shown]
.long 0xD3B24016, 0x18030116
.long 0xBF8C0F7C
.long 0xD3B24016, 0x18031116
.long 0xBF8C0F7B
	;; [unrolled: 2-line block ×14, first 2 shown]
.long 0xBF8C0F7C
.long 0xD3B24016, 0x18030116
.long 0xBF8C0F7B
.long 0xD3B24016, 0x18031116
	;; [unrolled: 2-line block ×13, first 2 shown]
.long 0xBF8200F6
.long 0xBF8C0F7B
.long 0xD3B24016, 0x18030116
.long 0xBF8C0F7A
.long 0xD3B24016, 0x18031116
	;; [unrolled: 2-line block ×12, first 2 shown]
.long 0xBF8200D1
.long 0xBF8C0F7A
.long 0xD3B24016, 0x18030116
.long 0xBF8C0F79
.long 0xD3B24016, 0x18031116
	;; [unrolled: 2-line block ×11, first 2 shown]
.long 0xBF8200AF
.long 0xBF8C0F79
.long 0xD3B24016, 0x18030116
.long 0xBF8C0F78
.long 0xD3B24016, 0x18031116
	;; [unrolled: 2-line block ×10, first 2 shown]
.long 0xBF820090
.long 0xBF8C0F78
.long 0xD3B24016, 0x18030116
.long 0xBF8C0F77
.long 0xD3B24016, 0x18031116
	;; [unrolled: 2-line block ×9, first 2 shown]
.long 0xBF820074
.long 0xBF8C0F77
.long 0xD3B24016, 0x18030116
.long 0xBF8C0F76
.long 0xD3B24016, 0x18031116
	;; [unrolled: 2-line block ×8, first 2 shown]
.long 0xBF82005B
.long 0xBF8C0F76
.long 0xD3B24016, 0x18030116
.long 0xBF8C0F75
.long 0xD3B24016, 0x18031116
	;; [unrolled: 2-line block ×7, first 2 shown]
.long 0xBF820045
.long 0xBF8C0F75
.long 0xD3B24016, 0x18030116
.long 0xBF8C0F74
.long 0xD3B24016, 0x18031116
	;; [unrolled: 2-line block ×6, first 2 shown]
.long 0xBF820032
.long 0xBF8C0F74
.long 0xD3B24016, 0x18030116
.long 0xBF8C0F73
.long 0xD3B24016, 0x18031116
.long 0xBF8C0F72
.long 0xD3B24016, 0x18032116
.long 0xBF8C0F71
.long 0xD3B24016, 0x18033116
.long 0xBF8C0F70
.long 0xD3B24016, 0x18034116
.long 0xBF820022
.long 0xBF8C0F73
.long 0xD3B24016, 0x18030116
.long 0xBF8C0F72
.long 0xD3B24016, 0x18031116
	;; [unrolled: 2-line block ×4, first 2 shown]
.long 0xBF820015
.long 0xBF8C0F72
.long 0xD3B24016, 0x18030116
.long 0xBF8C0F71
.long 0xD3B24016, 0x18031116
	;; [unrolled: 2-line block ×3, first 2 shown]
.long 0xBF82000B
.long 0xBF8C0F71
.long 0xD3B24016, 0x18030116
.long 0xBF8C0F70
.long 0xD3B24016, 0x18031116
.long 0xBF820004
.long 0xBF8C0F70
.long 0xD3B24016, 0x18030116
.long 0xBF820000
.long 0x0A202030
	;; [unrolled: 1-line block ×9, first 2 shown]
.long 0xD0CC0038, 0x0001004A
.long 0xD100000E, 0x00E21CF2
	;; [unrolled: 1-line block ×6, first 2 shown]
.long 0x7E204110
.long 0xBF800000
	;; [unrolled: 1-line block ×5, first 2 shown]
.long 0x0A2222FF, 0xBFB8AA3B
.long 0x7E224111
.long 0xBF800000
	;; [unrolled: 1-line block ×7, first 2 shown]
.long 0xD2A00010, 0x00022310
.long 0xE070D000, 0x80141007
.long 0xBF800000
.long 0xD0CC0038, 0x0001004A
.long 0xD100000E, 0x00E21CF2
.long 0xD100000F, 0x00E21EF2
.long 0xD3B14012, 0x1802250E
.long 0xD3B24012, 0x1802250C
.long 0x0A2424FF, 0xBFB8AA3B
.long 0x7E244112
.long 0xBF800000
.long 0x022424F2
.long 0x7E244512
.long 0xBF800000
.long 0x0A2626FF, 0xBFB8AA3B
.long 0x7E264113
.long 0xBF800000
.long 0x022626F2
.long 0x7E264513
.long 0xBF800000
.long 0x7E241512
.long 0x7E261513
.long 0xD2A00012, 0x00022712
.long 0x8E428128
.long 0x80504250
.long 0x82518051
.long 0xE070D000, 0x80141207
.long 0xBF800000
.long 0xD0CC0038, 0x0001004A
.long 0xD100000E, 0x00E21CF2
.long 0xD100000F, 0x00E21EF2
.long 0xD3B14014, 0x1802290E
.long 0xD3B24014, 0x1802290C
.long 0x0A2828FF, 0xBFB8AA3B
.long 0x7E284114
.long 0xBF800000
.long 0x022828F2
.long 0x7E284514
.long 0xBF800000
.long 0x0A2A2AFF, 0xBFB8AA3B
.long 0x7E2A4115
.long 0xBF800000
.long 0x022A2AF2
.long 0x7E2A4515
.long 0xBF800000
.long 0x7E281514
.long 0x7E2A1515
.long 0xD2A00014, 0x00022B14
.long 0x8E428128
.long 0x80504250
.long 0x82518051
	;; [unrolled: 25-line block ×3, first 2 shown]
.long 0xE070D000, 0x80141607
.long 0xBF800000
.long 0xBF800000
	;; [unrolled: 1-line block ×3, first 2 shown]
.long 0x924202FF, 0x00000080
.long 0xD1350009, 0x00008500
.long 0x24121282
.long 0xBF8CC07F
	;; [unrolled: 1-line block ×3, first 2 shown]
.long 0xD8EC0000, 0x0C000009
.long 0x24140082
.long 0xE0541000, 0x80120E0A
.long 0xD1FE0006, 0x020A0103
	;; [unrolled: 1-line block ×11, first 2 shown]
.long 0xBF800001
.long 0xE074D000, 0x80031006
.long 0x8E428228
.long 0x800C420C
.long 0x820D800D
.long 0xE074D000, 0x80031206
.long 0x8E428228
.long 0x800C420C
	;; [unrolled: 4-line block ×4, first 2 shown]
.long 0x92330454
.long 0x92411403
	;; [unrolled: 1-line block ×14, first 2 shown]
.long 0xC2330CCC, 0x00000000
.long 0x965B811C
.long 0x925A811C
	;; [unrolled: 1-line block ×15, first 2 shown]
.long 0x7E1602FF, 0x80000000
.long 0xBEDC0016
.long 0xBEDD0017
	;; [unrolled: 1-line block ×7, first 2 shown]
.long 0xE054D000, 0x80171006
.long 0xBE850032
.long 0x81858105
	;; [unrolled: 1-line block ×6, first 2 shown]
.long 0xE054D000, 0x80178006
.long 0x81858105
.long 0x805C565C
.long 0x825D575D
.long 0xBF008005
.long 0xBF850276
.long 0xE054D000, 0x80178806
.long 0x81858105
.long 0x805C565C
.long 0x825D575D
.long 0xBF008005
.long 0xBF850268
	;; [unrolled: 6-line block ×14, first 2 shown]
.long 0xE054D000, 0x8017F006
.long 0xBF8C0F7E
.long 0xD3B24010, 0x18030110
.long 0x81858105
.long 0xBF05CE05
.long 0xBF850217
.long 0x805C565C
.long 0x825D575D
.long 0xD0C60058, 0x00000A80
.long 0xD1000018, 0x01621706
.long 0xE054D000, 0x80178018
.long 0xBF8C0F7E
.long 0xD3B24010, 0x18031110
.long 0x81858105
.long 0xBF05CE05
.long 0xBF850209
.long 0x805C565C
.long 0x825D575D
.long 0xD0C60058, 0x00000A80
.long 0xD1000018, 0x01621706
	;; [unrolled: 10-line block ×15, first 2 shown]
.long 0xE054D000, 0x8017F018
.long 0xBF02CE05
.long 0xBF85FF2C
	;; [unrolled: 1-line block ×3, first 2 shown]
.long 0xD3B24010, 0x18030110
.long 0xBF8C0F7C
.long 0xD3B24010, 0x18031110
.long 0xBF8C0F7B
	;; [unrolled: 2-line block ×14, first 2 shown]
.long 0xBF8C0F7C
.long 0xD3B24010, 0x18030110
.long 0xBF8C0F7B
.long 0xD3B24010, 0x18031110
	;; [unrolled: 2-line block ×13, first 2 shown]
.long 0xBF8200F6
.long 0xBF8C0F7B
.long 0xD3B24010, 0x18030110
.long 0xBF8C0F7A
.long 0xD3B24010, 0x18031110
	;; [unrolled: 2-line block ×12, first 2 shown]
.long 0xBF8200D1
.long 0xBF8C0F7A
.long 0xD3B24010, 0x18030110
.long 0xBF8C0F79
.long 0xD3B24010, 0x18031110
	;; [unrolled: 2-line block ×11, first 2 shown]
.long 0xBF8200AF
.long 0xBF8C0F79
.long 0xD3B24010, 0x18030110
.long 0xBF8C0F78
.long 0xD3B24010, 0x18031110
.long 0xBF8C0F77
.long 0xD3B24010, 0x18032110
.long 0xBF8C0F76
.long 0xD3B24010, 0x18033110
.long 0xBF8C0F75
.long 0xD3B24010, 0x18034110
.long 0xBF8C0F74
.long 0xD3B24010, 0x18035110
.long 0xBF8C0F73
.long 0xD3B24010, 0x18036110
.long 0xBF8C0F72
.long 0xD3B24010, 0x18037110
.long 0xBF8C0F71
.long 0xD3B24010, 0x18038110
.long 0xBF8C0F70
.long 0xD3B24010, 0x18039110
.long 0xBF820090
.long 0xBF8C0F78
.long 0xD3B24010, 0x18030110
.long 0xBF8C0F77
.long 0xD3B24010, 0x18031110
.long 0xBF8C0F76
.long 0xD3B24010, 0x18032110
.long 0xBF8C0F75
.long 0xD3B24010, 0x18033110
.long 0xBF8C0F74
.long 0xD3B24010, 0x18034110
.long 0xBF8C0F73
.long 0xD3B24010, 0x18035110
.long 0xBF8C0F72
.long 0xD3B24010, 0x18036110
.long 0xBF8C0F71
.long 0xD3B24010, 0x18037110
.long 0xBF8C0F70
.long 0xD3B24010, 0x18038110
.long 0xBF820074
.long 0xBF8C0F77
.long 0xD3B24010, 0x18030110
.long 0xBF8C0F76
.long 0xD3B24010, 0x18031110
	;; [unrolled: 2-line block ×8, first 2 shown]
.long 0xBF82005B
.long 0xBF8C0F76
.long 0xD3B24010, 0x18030110
.long 0xBF8C0F75
.long 0xD3B24010, 0x18031110
	;; [unrolled: 2-line block ×7, first 2 shown]
.long 0xBF820045
.long 0xBF8C0F75
.long 0xD3B24010, 0x18030110
.long 0xBF8C0F74
.long 0xD3B24010, 0x18031110
	;; [unrolled: 2-line block ×6, first 2 shown]
.long 0xBF820032
.long 0xBF8C0F74
.long 0xD3B24010, 0x18030110
.long 0xBF8C0F73
.long 0xD3B24010, 0x18031110
	;; [unrolled: 2-line block ×5, first 2 shown]
.long 0xBF820022
.long 0xBF8C0F73
.long 0xD3B24010, 0x18030110
.long 0xBF8C0F72
.long 0xD3B24010, 0x18031110
	;; [unrolled: 2-line block ×4, first 2 shown]
.long 0xBF820015
.long 0xBF8C0F72
.long 0xD3B24010, 0x18030110
.long 0xBF8C0F71
.long 0xD3B24010, 0x18031110
	;; [unrolled: 2-line block ×3, first 2 shown]
.long 0xBF82000B
.long 0xBF8C0F71
.long 0xD3B24010, 0x18030110
.long 0xBF8C0F70
.long 0xD3B24010, 0x18031110
.long 0xBF820004
.long 0xBF8C0F70
.long 0xD3B24010, 0x18030110
.long 0xBF820000
.long 0x7E1602FF, 0x80000000
.long 0xBEDC0016
.long 0xBEDD0017
	;; [unrolled: 1-line block ×9, first 2 shown]
.long 0xE054D000, 0x80171206
.long 0xBE850032
.long 0x81858105
	;; [unrolled: 1-line block ×6, first 2 shown]
.long 0xE054D000, 0x80178006
.long 0x81858105
.long 0x805C565C
.long 0x825D575D
.long 0xBF008005
.long 0xBF850276
.long 0xE054D000, 0x80178806
.long 0x81858105
.long 0x805C565C
.long 0x825D575D
.long 0xBF008005
.long 0xBF850268
	;; [unrolled: 6-line block ×14, first 2 shown]
.long 0xE054D000, 0x8017F006
.long 0xBF8C0F7E
.long 0xD3B24012, 0x18030112
.long 0x81858105
.long 0xBF05CE05
.long 0xBF850217
.long 0x805C565C
.long 0x825D575D
.long 0xD0C60058, 0x00000A80
.long 0xD1000018, 0x01621706
.long 0xE054D000, 0x80178018
.long 0xBF8C0F7E
.long 0xD3B24012, 0x18031112
.long 0x81858105
.long 0xBF05CE05
.long 0xBF850209
.long 0x805C565C
.long 0x825D575D
.long 0xD0C60058, 0x00000A80
.long 0xD1000018, 0x01621706
	;; [unrolled: 10-line block ×15, first 2 shown]
.long 0xE054D000, 0x8017F018
.long 0xBF02CE05
.long 0xBF85FF2C
	;; [unrolled: 1-line block ×3, first 2 shown]
.long 0xD3B24012, 0x18030112
.long 0xBF8C0F7C
.long 0xD3B24012, 0x18031112
.long 0xBF8C0F7B
	;; [unrolled: 2-line block ×14, first 2 shown]
.long 0xBF8C0F7C
.long 0xD3B24012, 0x18030112
.long 0xBF8C0F7B
.long 0xD3B24012, 0x18031112
	;; [unrolled: 2-line block ×13, first 2 shown]
.long 0xBF8200F6
.long 0xBF8C0F7B
.long 0xD3B24012, 0x18030112
.long 0xBF8C0F7A
.long 0xD3B24012, 0x18031112
	;; [unrolled: 2-line block ×12, first 2 shown]
.long 0xBF8200D1
.long 0xBF8C0F7A
.long 0xD3B24012, 0x18030112
.long 0xBF8C0F79
.long 0xD3B24012, 0x18031112
	;; [unrolled: 2-line block ×11, first 2 shown]
.long 0xBF8200AF
.long 0xBF8C0F79
.long 0xD3B24012, 0x18030112
.long 0xBF8C0F78
.long 0xD3B24012, 0x18031112
	;; [unrolled: 2-line block ×10, first 2 shown]
.long 0xBF820090
.long 0xBF8C0F78
.long 0xD3B24012, 0x18030112
.long 0xBF8C0F77
.long 0xD3B24012, 0x18031112
.long 0xBF8C0F76
.long 0xD3B24012, 0x18032112
.long 0xBF8C0F75
.long 0xD3B24012, 0x18033112
.long 0xBF8C0F74
.long 0xD3B24012, 0x18034112
.long 0xBF8C0F73
.long 0xD3B24012, 0x18035112
.long 0xBF8C0F72
.long 0xD3B24012, 0x18036112
.long 0xBF8C0F71
.long 0xD3B24012, 0x18037112
.long 0xBF8C0F70
.long 0xD3B24012, 0x18038112
.long 0xBF820074
.long 0xBF8C0F77
.long 0xD3B24012, 0x18030112
.long 0xBF8C0F76
.long 0xD3B24012, 0x18031112
	;; [unrolled: 2-line block ×8, first 2 shown]
.long 0xBF82005B
.long 0xBF8C0F76
.long 0xD3B24012, 0x18030112
.long 0xBF8C0F75
.long 0xD3B24012, 0x18031112
	;; [unrolled: 2-line block ×7, first 2 shown]
.long 0xBF820045
.long 0xBF8C0F75
.long 0xD3B24012, 0x18030112
.long 0xBF8C0F74
.long 0xD3B24012, 0x18031112
	;; [unrolled: 2-line block ×6, first 2 shown]
.long 0xBF820032
.long 0xBF8C0F74
.long 0xD3B24012, 0x18030112
.long 0xBF8C0F73
.long 0xD3B24012, 0x18031112
	;; [unrolled: 2-line block ×5, first 2 shown]
.long 0xBF820022
.long 0xBF8C0F73
.long 0xD3B24012, 0x18030112
.long 0xBF8C0F72
.long 0xD3B24012, 0x18031112
	;; [unrolled: 2-line block ×4, first 2 shown]
.long 0xBF820015
.long 0xBF8C0F72
.long 0xD3B24012, 0x18030112
.long 0xBF8C0F71
.long 0xD3B24012, 0x18031112
	;; [unrolled: 2-line block ×3, first 2 shown]
.long 0xBF82000B
.long 0xBF8C0F71
.long 0xD3B24012, 0x18030112
.long 0xBF8C0F70
.long 0xD3B24012, 0x18031112
.long 0xBF820004
.long 0xBF8C0F70
.long 0xD3B24012, 0x18030112
.long 0xBF820000
.long 0x7E1602FF, 0x80000000
.long 0xBEDC0016
.long 0xBEDD0017
	;; [unrolled: 1-line block ×9, first 2 shown]
.long 0xE054D000, 0x80171406
.long 0xBE850032
.long 0x81858105
	;; [unrolled: 1-line block ×6, first 2 shown]
.long 0xE054D000, 0x80178006
.long 0x81858105
.long 0x805C565C
.long 0x825D575D
.long 0xBF008005
.long 0xBF850276
.long 0xE054D000, 0x80178806
.long 0x81858105
.long 0x805C565C
.long 0x825D575D
.long 0xBF008005
.long 0xBF850268
	;; [unrolled: 6-line block ×14, first 2 shown]
.long 0xE054D000, 0x8017F006
.long 0xBF8C0F7E
.long 0xD3B24014, 0x18030114
.long 0x81858105
.long 0xBF05CE05
.long 0xBF850217
.long 0x805C565C
.long 0x825D575D
.long 0xD0C60058, 0x00000A80
.long 0xD1000018, 0x01621706
.long 0xE054D000, 0x80178018
.long 0xBF8C0F7E
.long 0xD3B24014, 0x18031114
.long 0x81858105
.long 0xBF05CE05
.long 0xBF850209
.long 0x805C565C
.long 0x825D575D
.long 0xD0C60058, 0x00000A80
.long 0xD1000018, 0x01621706
	;; [unrolled: 10-line block ×15, first 2 shown]
.long 0xE054D000, 0x8017F018
.long 0xBF02CE05
.long 0xBF85FF2C
	;; [unrolled: 1-line block ×3, first 2 shown]
.long 0xD3B24014, 0x18030114
.long 0xBF8C0F7C
.long 0xD3B24014, 0x18031114
.long 0xBF8C0F7B
	;; [unrolled: 2-line block ×14, first 2 shown]
.long 0xBF8C0F7C
.long 0xD3B24014, 0x18030114
.long 0xBF8C0F7B
.long 0xD3B24014, 0x18031114
	;; [unrolled: 2-line block ×13, first 2 shown]
.long 0xBF8200F6
.long 0xBF8C0F7B
.long 0xD3B24014, 0x18030114
.long 0xBF8C0F7A
.long 0xD3B24014, 0x18031114
	;; [unrolled: 2-line block ×12, first 2 shown]
.long 0xBF8200D1
.long 0xBF8C0F7A
.long 0xD3B24014, 0x18030114
.long 0xBF8C0F79
.long 0xD3B24014, 0x18031114
	;; [unrolled: 2-line block ×11, first 2 shown]
.long 0xBF8200AF
.long 0xBF8C0F79
.long 0xD3B24014, 0x18030114
.long 0xBF8C0F78
.long 0xD3B24014, 0x18031114
	;; [unrolled: 2-line block ×10, first 2 shown]
.long 0xBF820090
.long 0xBF8C0F78
.long 0xD3B24014, 0x18030114
.long 0xBF8C0F77
.long 0xD3B24014, 0x18031114
	;; [unrolled: 2-line block ×9, first 2 shown]
.long 0xBF820074
.long 0xBF8C0F77
.long 0xD3B24014, 0x18030114
.long 0xBF8C0F76
.long 0xD3B24014, 0x18031114
	;; [unrolled: 2-line block ×8, first 2 shown]
.long 0xBF82005B
.long 0xBF8C0F76
.long 0xD3B24014, 0x18030114
.long 0xBF8C0F75
.long 0xD3B24014, 0x18031114
.long 0xBF8C0F74
.long 0xD3B24014, 0x18032114
.long 0xBF8C0F73
.long 0xD3B24014, 0x18033114
.long 0xBF8C0F72
.long 0xD3B24014, 0x18034114
.long 0xBF8C0F71
.long 0xD3B24014, 0x18035114
.long 0xBF8C0F70
.long 0xD3B24014, 0x18036114
.long 0xBF820045
.long 0xBF8C0F75
.long 0xD3B24014, 0x18030114
.long 0xBF8C0F74
.long 0xD3B24014, 0x18031114
	;; [unrolled: 2-line block ×6, first 2 shown]
.long 0xBF820032
.long 0xBF8C0F74
.long 0xD3B24014, 0x18030114
.long 0xBF8C0F73
.long 0xD3B24014, 0x18031114
	;; [unrolled: 2-line block ×5, first 2 shown]
.long 0xBF820022
.long 0xBF8C0F73
.long 0xD3B24014, 0x18030114
.long 0xBF8C0F72
.long 0xD3B24014, 0x18031114
.long 0xBF8C0F71
.long 0xD3B24014, 0x18032114
.long 0xBF8C0F70
.long 0xD3B24014, 0x18033114
.long 0xBF820015
.long 0xBF8C0F72
.long 0xD3B24014, 0x18030114
.long 0xBF8C0F71
.long 0xD3B24014, 0x18031114
	;; [unrolled: 2-line block ×3, first 2 shown]
.long 0xBF82000B
.long 0xBF8C0F71
.long 0xD3B24014, 0x18030114
.long 0xBF8C0F70
.long 0xD3B24014, 0x18031114
.long 0xBF820004
.long 0xBF8C0F70
.long 0xD3B24014, 0x18030114
.long 0xBF820000
.long 0x7E1602FF, 0x80000000
.long 0xBEDC0016
.long 0xBEDD0017
	;; [unrolled: 1-line block ×9, first 2 shown]
.long 0xE054D000, 0x80171606
.long 0xBE850032
.long 0x81858105
	;; [unrolled: 1-line block ×6, first 2 shown]
.long 0xE054D000, 0x80178006
.long 0x81858105
.long 0x805C565C
.long 0x825D575D
.long 0xBF008005
.long 0xBF850276
.long 0xE054D000, 0x80178806
.long 0x81858105
.long 0x805C565C
.long 0x825D575D
.long 0xBF008005
.long 0xBF850268
	;; [unrolled: 6-line block ×14, first 2 shown]
.long 0xE054D000, 0x8017F006
.long 0xBF8C0F7E
.long 0xD3B24016, 0x18030116
.long 0x81858105
.long 0xBF05CE05
.long 0xBF850217
.long 0x805C565C
.long 0x825D575D
.long 0xD0C60058, 0x00000A80
.long 0xD1000018, 0x01621706
.long 0xE054D000, 0x80178018
.long 0xBF8C0F7E
.long 0xD3B24016, 0x18031116
.long 0x81858105
.long 0xBF05CE05
.long 0xBF850209
.long 0x805C565C
.long 0x825D575D
.long 0xD0C60058, 0x00000A80
.long 0xD1000018, 0x01621706
	;; [unrolled: 10-line block ×15, first 2 shown]
.long 0xE054D000, 0x8017F018
.long 0xBF02CE05
.long 0xBF85FF2C
	;; [unrolled: 1-line block ×3, first 2 shown]
.long 0xD3B24016, 0x18030116
.long 0xBF8C0F7C
.long 0xD3B24016, 0x18031116
.long 0xBF8C0F7B
	;; [unrolled: 2-line block ×14, first 2 shown]
.long 0xBF8C0F7C
.long 0xD3B24016, 0x18030116
.long 0xBF8C0F7B
.long 0xD3B24016, 0x18031116
	;; [unrolled: 2-line block ×13, first 2 shown]
.long 0xBF8200F6
.long 0xBF8C0F7B
.long 0xD3B24016, 0x18030116
.long 0xBF8C0F7A
.long 0xD3B24016, 0x18031116
	;; [unrolled: 2-line block ×12, first 2 shown]
.long 0xBF8200D1
.long 0xBF8C0F7A
.long 0xD3B24016, 0x18030116
.long 0xBF8C0F79
.long 0xD3B24016, 0x18031116
	;; [unrolled: 2-line block ×11, first 2 shown]
.long 0xBF8200AF
.long 0xBF8C0F79
.long 0xD3B24016, 0x18030116
.long 0xBF8C0F78
.long 0xD3B24016, 0x18031116
.long 0xBF8C0F77
.long 0xD3B24016, 0x18032116
.long 0xBF8C0F76
.long 0xD3B24016, 0x18033116
.long 0xBF8C0F75
.long 0xD3B24016, 0x18034116
.long 0xBF8C0F74
.long 0xD3B24016, 0x18035116
.long 0xBF8C0F73
.long 0xD3B24016, 0x18036116
.long 0xBF8C0F72
.long 0xD3B24016, 0x18037116
.long 0xBF8C0F71
.long 0xD3B24016, 0x18038116
.long 0xBF8C0F70
.long 0xD3B24016, 0x18039116
.long 0xBF820090
.long 0xBF8C0F78
.long 0xD3B24016, 0x18030116
.long 0xBF8C0F77
.long 0xD3B24016, 0x18031116
	;; [unrolled: 2-line block ×9, first 2 shown]
.long 0xBF820074
.long 0xBF8C0F77
.long 0xD3B24016, 0x18030116
.long 0xBF8C0F76
.long 0xD3B24016, 0x18031116
	;; [unrolled: 2-line block ×8, first 2 shown]
.long 0xBF82005B
.long 0xBF8C0F76
.long 0xD3B24016, 0x18030116
.long 0xBF8C0F75
.long 0xD3B24016, 0x18031116
	;; [unrolled: 2-line block ×7, first 2 shown]
.long 0xBF820045
.long 0xBF8C0F75
.long 0xD3B24016, 0x18030116
.long 0xBF8C0F74
.long 0xD3B24016, 0x18031116
.long 0xBF8C0F73
.long 0xD3B24016, 0x18032116
.long 0xBF8C0F72
.long 0xD3B24016, 0x18033116
.long 0xBF8C0F71
.long 0xD3B24016, 0x18034116
.long 0xBF8C0F70
.long 0xD3B24016, 0x18035116
.long 0xBF820032
.long 0xBF8C0F74
.long 0xD3B24016, 0x18030116
.long 0xBF8C0F73
.long 0xD3B24016, 0x18031116
	;; [unrolled: 2-line block ×5, first 2 shown]
.long 0xBF820022
.long 0xBF8C0F73
.long 0xD3B24016, 0x18030116
.long 0xBF8C0F72
.long 0xD3B24016, 0x18031116
	;; [unrolled: 2-line block ×4, first 2 shown]
.long 0xBF820015
.long 0xBF8C0F72
.long 0xD3B24016, 0x18030116
.long 0xBF8C0F71
.long 0xD3B24016, 0x18031116
	;; [unrolled: 2-line block ×3, first 2 shown]
.long 0xBF82000B
.long 0xBF8C0F71
.long 0xD3B24016, 0x18030116
.long 0xBF8C0F70
.long 0xD3B24016, 0x18031116
.long 0xBF820004
.long 0xBF8C0F70
.long 0xD3B24016, 0x18030116
.long 0xBF820000
.long 0x0A202030
	;; [unrolled: 1-line block ×9, first 2 shown]
.long 0xD0CC0038, 0x0001004A
.long 0xD100000E, 0x00E21CF2
	;; [unrolled: 1-line block ×5, first 2 shown]
.long 0x0A20203E
.long 0x0A2020FF, 0x4038AA3B
.long 0x7E204110
.long 0xBF800000
	;; [unrolled: 1-line block ×5, first 2 shown]
.long 0xD1CB0010, 0x03CA20F5
.long 0x0A20203F
.long 0x0A22223E
.long 0x0A2222FF, 0x4038AA3B
.long 0x7E224111
.long 0xBF800000
	;; [unrolled: 1-line block ×5, first 2 shown]
.long 0xD1CB0011, 0x03CA22F5
.long 0x0A22223F
.long 0x7E201510
	;; [unrolled: 1-line block ×3, first 2 shown]
.long 0xD2A00010, 0x00022310
.long 0xE070D000, 0x80141007
.long 0xBF800000
.long 0xD0CC0038, 0x0001004A
.long 0xD100000E, 0x00E21CF2
.long 0xD100000F, 0x00E21EF2
.long 0xD3B14012, 0x1802250E
.long 0xD3B24012, 0x1802250C
.long 0x0A24243E
.long 0x0A2424FF, 0x4038AA3B
.long 0x7E244112
.long 0xBF800000
.long 0x022424F2
.long 0x7E244512
.long 0xBF800000
.long 0xD1CB0012, 0x03CA24F5
.long 0x0A24243F
.long 0x0A26263E
.long 0x0A2626FF, 0x4038AA3B
.long 0x7E264113
.long 0xBF800000
.long 0x022626F2
.long 0x7E264513
.long 0xBF800000
.long 0xD1CB0013, 0x03CA26F5
.long 0x0A26263F
.long 0x7E241512
.long 0x7E261513
.long 0xD2A00012, 0x00022712
.long 0x8E428128
.long 0x80504250
.long 0x82518051
.long 0xE070D000, 0x80141207
.long 0xBF800000
.long 0xD0CC0038, 0x0001004A
.long 0xD100000E, 0x00E21CF2
.long 0xD100000F, 0x00E21EF2
.long 0xD3B14014, 0x1802290E
.long 0xD3B24014, 0x1802290C
.long 0x0A28283E
.long 0x0A2828FF, 0x4038AA3B
.long 0x7E284114
.long 0xBF800000
.long 0x022828F2
.long 0x7E284514
.long 0xBF800000
.long 0xD1CB0014, 0x03CA28F5
.long 0x0A28283F
.long 0x0A2A2A3E
.long 0x0A2A2AFF, 0x4038AA3B
.long 0x7E2A4115
.long 0xBF800000
.long 0x022A2AF2
.long 0x7E2A4515
.long 0xBF800000
.long 0xD1CB0015, 0x03CA2AF5
.long 0x0A2A2A3F
.long 0x7E281514
.long 0x7E2A1515
.long 0xD2A00014, 0x00022B14
.long 0x8E428128
.long 0x80504250
.long 0x82518051
	;; [unrolled: 31-line block ×3, first 2 shown]
.long 0xE070D000, 0x80141607
.long 0xBF800000
.long 0xBF800000
.long 0xBF820B7F
.long 0x924202FF, 0x00000080
.long 0xD1350009, 0x00008500
.long 0x24121282
.long 0xBF8CC07F
	;; [unrolled: 1-line block ×3, first 2 shown]
.long 0xD8EC0000, 0x0C000009
.long 0x24140082
.long 0xE0541000, 0x80120E0A
.long 0xD1FE0006, 0x020A0103
	;; [unrolled: 1-line block ×11, first 2 shown]
.long 0xBF800001
.long 0xE074D000, 0x80031006
.long 0x8E428228
.long 0x800C420C
.long 0x820D800D
.long 0xE074D000, 0x80031206
.long 0x8E428228
.long 0x800C420C
	;; [unrolled: 4-line block ×4, first 2 shown]
.long 0x92330454
.long 0x92411403
	;; [unrolled: 1-line block ×14, first 2 shown]
.long 0xC2330CCC, 0x00000000
.long 0x965B811C
.long 0x925A811C
	;; [unrolled: 1-line block ×15, first 2 shown]
.long 0x7E1602FF, 0x80000000
.long 0xBEDC0016
.long 0xBEDD0017
	;; [unrolled: 1-line block ×7, first 2 shown]
.long 0xE054D000, 0x80171006
.long 0xBE850032
.long 0x81858105
.long 0x805C565C
.long 0x825D575D
.long 0xBF008005
.long 0xBF850281
.long 0xE054D000, 0x80178006
.long 0x81858105
.long 0x805C565C
.long 0x825D575D
.long 0xBF008005
.long 0xBF850276
.long 0xE054D000, 0x80178806
.long 0x81858105
.long 0x805C565C
.long 0x825D575D
.long 0xBF008005
.long 0xBF850268
	;; [unrolled: 6-line block ×14, first 2 shown]
.long 0xE054D000, 0x8017F006
.long 0xBF8C0F7E
.long 0xD3B24010, 0x18030110
.long 0x81858105
.long 0xBF05CE05
.long 0xBF850217
.long 0x805C565C
.long 0x825D575D
.long 0xD0C60058, 0x00000A80
.long 0xD1000018, 0x01621706
.long 0xE054D000, 0x80178018
.long 0xBF8C0F7E
.long 0xD3B24010, 0x18031110
.long 0x81858105
.long 0xBF05CE05
.long 0xBF850209
.long 0x805C565C
.long 0x825D575D
.long 0xD0C60058, 0x00000A80
.long 0xD1000018, 0x01621706
	;; [unrolled: 10-line block ×15, first 2 shown]
.long 0xE054D000, 0x8017F018
.long 0xBF02CE05
.long 0xBF85FF2C
	;; [unrolled: 1-line block ×3, first 2 shown]
.long 0xD3B24010, 0x18030110
.long 0xBF8C0F7C
.long 0xD3B24010, 0x18031110
.long 0xBF8C0F7B
	;; [unrolled: 2-line block ×14, first 2 shown]
.long 0xBF8C0F7C
.long 0xD3B24010, 0x18030110
.long 0xBF8C0F7B
.long 0xD3B24010, 0x18031110
	;; [unrolled: 2-line block ×13, first 2 shown]
.long 0xBF8200F6
.long 0xBF8C0F7B
.long 0xD3B24010, 0x18030110
.long 0xBF8C0F7A
.long 0xD3B24010, 0x18031110
	;; [unrolled: 2-line block ×12, first 2 shown]
.long 0xBF8200D1
.long 0xBF8C0F7A
.long 0xD3B24010, 0x18030110
.long 0xBF8C0F79
.long 0xD3B24010, 0x18031110
.long 0xBF8C0F78
.long 0xD3B24010, 0x18032110
.long 0xBF8C0F77
.long 0xD3B24010, 0x18033110
.long 0xBF8C0F76
.long 0xD3B24010, 0x18034110
.long 0xBF8C0F75
.long 0xD3B24010, 0x18035110
.long 0xBF8C0F74
.long 0xD3B24010, 0x18036110
.long 0xBF8C0F73
.long 0xD3B24010, 0x18037110
.long 0xBF8C0F72
.long 0xD3B24010, 0x18038110
.long 0xBF8C0F71
.long 0xD3B24010, 0x18039110
.long 0xBF8C0F70
.long 0xD3B24010, 0x1803A110
.long 0xBF8200AF
.long 0xBF8C0F79
.long 0xD3B24010, 0x18030110
.long 0xBF8C0F78
.long 0xD3B24010, 0x18031110
	;; [unrolled: 2-line block ×10, first 2 shown]
.long 0xBF820090
.long 0xBF8C0F78
.long 0xD3B24010, 0x18030110
.long 0xBF8C0F77
.long 0xD3B24010, 0x18031110
	;; [unrolled: 2-line block ×9, first 2 shown]
.long 0xBF820074
.long 0xBF8C0F77
.long 0xD3B24010, 0x18030110
.long 0xBF8C0F76
.long 0xD3B24010, 0x18031110
.long 0xBF8C0F75
.long 0xD3B24010, 0x18032110
.long 0xBF8C0F74
.long 0xD3B24010, 0x18033110
.long 0xBF8C0F73
.long 0xD3B24010, 0x18034110
.long 0xBF8C0F72
.long 0xD3B24010, 0x18035110
.long 0xBF8C0F71
.long 0xD3B24010, 0x18036110
.long 0xBF8C0F70
.long 0xD3B24010, 0x18037110
.long 0xBF82005B
.long 0xBF8C0F76
.long 0xD3B24010, 0x18030110
.long 0xBF8C0F75
.long 0xD3B24010, 0x18031110
	;; [unrolled: 2-line block ×7, first 2 shown]
.long 0xBF820045
.long 0xBF8C0F75
.long 0xD3B24010, 0x18030110
.long 0xBF8C0F74
.long 0xD3B24010, 0x18031110
	;; [unrolled: 2-line block ×6, first 2 shown]
.long 0xBF820032
.long 0xBF8C0F74
.long 0xD3B24010, 0x18030110
.long 0xBF8C0F73
.long 0xD3B24010, 0x18031110
.long 0xBF8C0F72
.long 0xD3B24010, 0x18032110
.long 0xBF8C0F71
.long 0xD3B24010, 0x18033110
.long 0xBF8C0F70
.long 0xD3B24010, 0x18034110
.long 0xBF820022
.long 0xBF8C0F73
.long 0xD3B24010, 0x18030110
.long 0xBF8C0F72
.long 0xD3B24010, 0x18031110
	;; [unrolled: 2-line block ×4, first 2 shown]
.long 0xBF820015
.long 0xBF8C0F72
.long 0xD3B24010, 0x18030110
.long 0xBF8C0F71
.long 0xD3B24010, 0x18031110
	;; [unrolled: 2-line block ×3, first 2 shown]
.long 0xBF82000B
.long 0xBF8C0F71
.long 0xD3B24010, 0x18030110
.long 0xBF8C0F70
.long 0xD3B24010, 0x18031110
.long 0xBF820004
.long 0xBF8C0F70
.long 0xD3B24010, 0x18030110
.long 0xBF820000
.long 0x7E1602FF, 0x80000000
.long 0xBEDC0016
.long 0xBEDD0017
	;; [unrolled: 1-line block ×9, first 2 shown]
.long 0xE054D000, 0x80171206
.long 0xBE850032
.long 0x81858105
	;; [unrolled: 1-line block ×6, first 2 shown]
.long 0xE054D000, 0x80178006
.long 0x81858105
.long 0x805C565C
.long 0x825D575D
.long 0xBF008005
.long 0xBF850276
.long 0xE054D000, 0x80178806
.long 0x81858105
.long 0x805C565C
.long 0x825D575D
.long 0xBF008005
.long 0xBF850268
	;; [unrolled: 6-line block ×14, first 2 shown]
.long 0xE054D000, 0x8017F006
.long 0xBF8C0F7E
.long 0xD3B24012, 0x18030112
.long 0x81858105
.long 0xBF05CE05
.long 0xBF850217
.long 0x805C565C
.long 0x825D575D
.long 0xD0C60058, 0x00000A80
.long 0xD1000018, 0x01621706
.long 0xE054D000, 0x80178018
.long 0xBF8C0F7E
.long 0xD3B24012, 0x18031112
.long 0x81858105
.long 0xBF05CE05
.long 0xBF850209
.long 0x805C565C
.long 0x825D575D
.long 0xD0C60058, 0x00000A80
.long 0xD1000018, 0x01621706
	;; [unrolled: 10-line block ×15, first 2 shown]
.long 0xE054D000, 0x8017F018
.long 0xBF02CE05
.long 0xBF85FF2C
.long 0xBF8C0F7D
.long 0xD3B24012, 0x18030112
.long 0xBF8C0F7C
.long 0xD3B24012, 0x18031112
.long 0xBF8C0F7B
	;; [unrolled: 2-line block ×14, first 2 shown]
.long 0xBF8C0F7C
.long 0xD3B24012, 0x18030112
.long 0xBF8C0F7B
.long 0xD3B24012, 0x18031112
.long 0xBF8C0F7A
.long 0xD3B24012, 0x18032112
.long 0xBF8C0F79
.long 0xD3B24012, 0x18033112
.long 0xBF8C0F78
.long 0xD3B24012, 0x18034112
.long 0xBF8C0F77
.long 0xD3B24012, 0x18035112
.long 0xBF8C0F76
.long 0xD3B24012, 0x18036112
.long 0xBF8C0F75
.long 0xD3B24012, 0x18037112
.long 0xBF8C0F74
.long 0xD3B24012, 0x18038112
.long 0xBF8C0F73
.long 0xD3B24012, 0x18039112
.long 0xBF8C0F72
.long 0xD3B24012, 0x1803A112
.long 0xBF8C0F71
.long 0xD3B24012, 0x1803B112
.long 0xBF8C0F70
.long 0xD3B24012, 0x1803C112
.long 0xBF8200F6
.long 0xBF8C0F7B
.long 0xD3B24012, 0x18030112
.long 0xBF8C0F7A
.long 0xD3B24012, 0x18031112
	;; [unrolled: 2-line block ×12, first 2 shown]
.long 0xBF8200D1
.long 0xBF8C0F7A
.long 0xD3B24012, 0x18030112
.long 0xBF8C0F79
.long 0xD3B24012, 0x18031112
	;; [unrolled: 2-line block ×11, first 2 shown]
.long 0xBF8200AF
.long 0xBF8C0F79
.long 0xD3B24012, 0x18030112
.long 0xBF8C0F78
.long 0xD3B24012, 0x18031112
	;; [unrolled: 2-line block ×10, first 2 shown]
.long 0xBF820090
.long 0xBF8C0F78
.long 0xD3B24012, 0x18030112
.long 0xBF8C0F77
.long 0xD3B24012, 0x18031112
	;; [unrolled: 2-line block ×9, first 2 shown]
.long 0xBF820074
.long 0xBF8C0F77
.long 0xD3B24012, 0x18030112
.long 0xBF8C0F76
.long 0xD3B24012, 0x18031112
	;; [unrolled: 2-line block ×8, first 2 shown]
.long 0xBF82005B
.long 0xBF8C0F76
.long 0xD3B24012, 0x18030112
.long 0xBF8C0F75
.long 0xD3B24012, 0x18031112
	;; [unrolled: 2-line block ×7, first 2 shown]
.long 0xBF820045
.long 0xBF8C0F75
.long 0xD3B24012, 0x18030112
.long 0xBF8C0F74
.long 0xD3B24012, 0x18031112
	;; [unrolled: 2-line block ×6, first 2 shown]
.long 0xBF820032
.long 0xBF8C0F74
.long 0xD3B24012, 0x18030112
.long 0xBF8C0F73
.long 0xD3B24012, 0x18031112
	;; [unrolled: 2-line block ×5, first 2 shown]
.long 0xBF820022
.long 0xBF8C0F73
.long 0xD3B24012, 0x18030112
.long 0xBF8C0F72
.long 0xD3B24012, 0x18031112
	;; [unrolled: 2-line block ×4, first 2 shown]
.long 0xBF820015
.long 0xBF8C0F72
.long 0xD3B24012, 0x18030112
.long 0xBF8C0F71
.long 0xD3B24012, 0x18031112
.long 0xBF8C0F70
.long 0xD3B24012, 0x18032112
.long 0xBF82000B
.long 0xBF8C0F71
.long 0xD3B24012, 0x18030112
.long 0xBF8C0F70
.long 0xD3B24012, 0x18031112
.long 0xBF820004
.long 0xBF8C0F70
.long 0xD3B24012, 0x18030112
.long 0xBF820000
.long 0x7E1602FF, 0x80000000
.long 0xBEDC0016
.long 0xBEDD0017
	;; [unrolled: 1-line block ×9, first 2 shown]
.long 0xE054D000, 0x80171406
.long 0xBE850032
.long 0x81858105
	;; [unrolled: 1-line block ×6, first 2 shown]
.long 0xE054D000, 0x80178006
.long 0x81858105
.long 0x805C565C
.long 0x825D575D
.long 0xBF008005
.long 0xBF850276
.long 0xE054D000, 0x80178806
.long 0x81858105
.long 0x805C565C
.long 0x825D575D
.long 0xBF008005
.long 0xBF850268
.long 0xE054D000, 0x80179006
.long 0x81858105
.long 0x805C565C
.long 0x825D575D
.long 0xBF008005
.long 0xBF850257
.long 0xE054D000, 0x80179806
.long 0x81858105
.long 0x805C565C
.long 0x825D575D
.long 0xBF008005
.long 0xBF850243
.long 0xE054D000, 0x8017A006
.long 0x81858105
.long 0x805C565C
.long 0x825D575D
.long 0xBF008005
.long 0xBF85022C
.long 0xE054D000, 0x8017A806
.long 0x81858105
.long 0x805C565C
.long 0x825D575D
.long 0xBF008005
.long 0xBF850212
.long 0xE054D000, 0x8017B006
.long 0x81858105
.long 0x805C565C
.long 0x825D575D
.long 0xBF008005
.long 0xBF8501F5
.long 0xE054D000, 0x8017B806
.long 0x81858105
.long 0x805C565C
.long 0x825D575D
.long 0xBF008005
.long 0xBF8501D5
.long 0xE054D000, 0x8017C006
.long 0x81858105
.long 0x805C565C
.long 0x825D575D
.long 0xBF008005
.long 0xBF8501B2
.long 0xE054D000, 0x8017C806
.long 0x81858105
.long 0x805C565C
.long 0x825D575D
.long 0xBF008005
.long 0xBF85018C
.long 0xE054D000, 0x8017D006
.long 0x81858105
.long 0x805C565C
.long 0x825D575D
.long 0xBF008005
.long 0xBF850163
.long 0xE054D000, 0x8017D806
.long 0x81858105
.long 0x805C565C
.long 0x825D575D
.long 0xBF008005
.long 0xBF850137
.long 0xE054D000, 0x8017E006
.long 0x81858105
.long 0x805C565C
.long 0x825D575D
.long 0xBF008005
.long 0xBF850108
.long 0xE054D000, 0x8017E806
.long 0x81858105
.long 0x805C565C
.long 0x825D575D
.long 0xBF008005
.long 0xBF8500D6
.long 0xE054D000, 0x8017F006
.long 0xBF8C0F7E
.long 0xD3B24014, 0x18030114
.long 0x81858105
.long 0xBF05CE05
.long 0xBF850217
.long 0x805C565C
.long 0x825D575D
.long 0xD0C60058, 0x00000A80
.long 0xD1000018, 0x01621706
.long 0xE054D000, 0x80178018
.long 0xBF8C0F7E
.long 0xD3B24014, 0x18031114
.long 0x81858105
.long 0xBF05CE05
.long 0xBF850209
.long 0x805C565C
.long 0x825D575D
.long 0xD0C60058, 0x00000A80
.long 0xD1000018, 0x01621706
	;; [unrolled: 10-line block ×15, first 2 shown]
.long 0xE054D000, 0x8017F018
.long 0xBF02CE05
.long 0xBF85FF2C
	;; [unrolled: 1-line block ×3, first 2 shown]
.long 0xD3B24014, 0x18030114
.long 0xBF8C0F7C
.long 0xD3B24014, 0x18031114
.long 0xBF8C0F7B
	;; [unrolled: 2-line block ×14, first 2 shown]
.long 0xBF8C0F7C
.long 0xD3B24014, 0x18030114
.long 0xBF8C0F7B
.long 0xD3B24014, 0x18031114
	;; [unrolled: 2-line block ×13, first 2 shown]
.long 0xBF8200F6
.long 0xBF8C0F7B
.long 0xD3B24014, 0x18030114
.long 0xBF8C0F7A
.long 0xD3B24014, 0x18031114
	;; [unrolled: 2-line block ×12, first 2 shown]
.long 0xBF8200D1
.long 0xBF8C0F7A
.long 0xD3B24014, 0x18030114
.long 0xBF8C0F79
.long 0xD3B24014, 0x18031114
	;; [unrolled: 2-line block ×11, first 2 shown]
.long 0xBF8200AF
.long 0xBF8C0F79
.long 0xD3B24014, 0x18030114
.long 0xBF8C0F78
.long 0xD3B24014, 0x18031114
	;; [unrolled: 2-line block ×10, first 2 shown]
.long 0xBF820090
.long 0xBF8C0F78
.long 0xD3B24014, 0x18030114
.long 0xBF8C0F77
.long 0xD3B24014, 0x18031114
	;; [unrolled: 2-line block ×9, first 2 shown]
.long 0xBF820074
.long 0xBF8C0F77
.long 0xD3B24014, 0x18030114
.long 0xBF8C0F76
.long 0xD3B24014, 0x18031114
	;; [unrolled: 2-line block ×8, first 2 shown]
.long 0xBF82005B
.long 0xBF8C0F76
.long 0xD3B24014, 0x18030114
.long 0xBF8C0F75
.long 0xD3B24014, 0x18031114
	;; [unrolled: 2-line block ×7, first 2 shown]
.long 0xBF820045
.long 0xBF8C0F75
.long 0xD3B24014, 0x18030114
.long 0xBF8C0F74
.long 0xD3B24014, 0x18031114
	;; [unrolled: 2-line block ×6, first 2 shown]
.long 0xBF820032
.long 0xBF8C0F74
.long 0xD3B24014, 0x18030114
.long 0xBF8C0F73
.long 0xD3B24014, 0x18031114
.long 0xBF8C0F72
.long 0xD3B24014, 0x18032114
.long 0xBF8C0F71
.long 0xD3B24014, 0x18033114
.long 0xBF8C0F70
.long 0xD3B24014, 0x18034114
.long 0xBF820022
.long 0xBF8C0F73
.long 0xD3B24014, 0x18030114
.long 0xBF8C0F72
.long 0xD3B24014, 0x18031114
.long 0xBF8C0F71
.long 0xD3B24014, 0x18032114
.long 0xBF8C0F70
.long 0xD3B24014, 0x18033114
.long 0xBF820015
.long 0xBF8C0F72
.long 0xD3B24014, 0x18030114
.long 0xBF8C0F71
.long 0xD3B24014, 0x18031114
	;; [unrolled: 2-line block ×3, first 2 shown]
.long 0xBF82000B
.long 0xBF8C0F71
.long 0xD3B24014, 0x18030114
.long 0xBF8C0F70
.long 0xD3B24014, 0x18031114
.long 0xBF820004
.long 0xBF8C0F70
.long 0xD3B24014, 0x18030114
.long 0xBF820000
.long 0x7E1602FF, 0x80000000
.long 0xBEDC0016
.long 0xBEDD0017
	;; [unrolled: 1-line block ×9, first 2 shown]
.long 0xE054D000, 0x80171606
.long 0xBE850032
.long 0x81858105
	;; [unrolled: 1-line block ×6, first 2 shown]
.long 0xE054D000, 0x80178006
.long 0x81858105
.long 0x805C565C
.long 0x825D575D
.long 0xBF008005
.long 0xBF850276
.long 0xE054D000, 0x80178806
.long 0x81858105
.long 0x805C565C
.long 0x825D575D
.long 0xBF008005
.long 0xBF850268
.long 0xE054D000, 0x80179006
.long 0x81858105
.long 0x805C565C
.long 0x825D575D
.long 0xBF008005
.long 0xBF850257
.long 0xE054D000, 0x80179806
.long 0x81858105
.long 0x805C565C
.long 0x825D575D
.long 0xBF008005
.long 0xBF850243
.long 0xE054D000, 0x8017A006
.long 0x81858105
.long 0x805C565C
.long 0x825D575D
.long 0xBF008005
.long 0xBF85022C
.long 0xE054D000, 0x8017A806
.long 0x81858105
.long 0x805C565C
.long 0x825D575D
.long 0xBF008005
.long 0xBF850212
.long 0xE054D000, 0x8017B006
.long 0x81858105
.long 0x805C565C
.long 0x825D575D
.long 0xBF008005
.long 0xBF8501F5
.long 0xE054D000, 0x8017B806
.long 0x81858105
.long 0x805C565C
.long 0x825D575D
.long 0xBF008005
.long 0xBF8501D5
.long 0xE054D000, 0x8017C006
.long 0x81858105
.long 0x805C565C
.long 0x825D575D
.long 0xBF008005
.long 0xBF8501B2
.long 0xE054D000, 0x8017C806
.long 0x81858105
.long 0x805C565C
.long 0x825D575D
.long 0xBF008005
.long 0xBF85018C
.long 0xE054D000, 0x8017D006
.long 0x81858105
.long 0x805C565C
.long 0x825D575D
.long 0xBF008005
.long 0xBF850163
.long 0xE054D000, 0x8017D806
.long 0x81858105
.long 0x805C565C
.long 0x825D575D
.long 0xBF008005
.long 0xBF850137
.long 0xE054D000, 0x8017E006
.long 0x81858105
.long 0x805C565C
.long 0x825D575D
.long 0xBF008005
.long 0xBF850108
.long 0xE054D000, 0x8017E806
.long 0x81858105
.long 0x805C565C
.long 0x825D575D
.long 0xBF008005
.long 0xBF8500D6
.long 0xE054D000, 0x8017F006
.long 0xBF8C0F7E
.long 0xD3B24016, 0x18030116
.long 0x81858105
.long 0xBF05CE05
.long 0xBF850217
.long 0x805C565C
.long 0x825D575D
.long 0xD0C60058, 0x00000A80
.long 0xD1000018, 0x01621706
.long 0xE054D000, 0x80178018
.long 0xBF8C0F7E
.long 0xD3B24016, 0x18031116
.long 0x81858105
.long 0xBF05CE05
.long 0xBF850209
.long 0x805C565C
.long 0x825D575D
.long 0xD0C60058, 0x00000A80
.long 0xD1000018, 0x01621706
	;; [unrolled: 10-line block ×15, first 2 shown]
.long 0xE054D000, 0x8017F018
.long 0xBF02CE05
.long 0xBF85FF2C
	;; [unrolled: 1-line block ×3, first 2 shown]
.long 0xD3B24016, 0x18030116
.long 0xBF8C0F7C
.long 0xD3B24016, 0x18031116
.long 0xBF8C0F7B
	;; [unrolled: 2-line block ×14, first 2 shown]
.long 0xBF8C0F7C
.long 0xD3B24016, 0x18030116
.long 0xBF8C0F7B
.long 0xD3B24016, 0x18031116
	;; [unrolled: 2-line block ×13, first 2 shown]
.long 0xBF8200F6
.long 0xBF8C0F7B
.long 0xD3B24016, 0x18030116
.long 0xBF8C0F7A
.long 0xD3B24016, 0x18031116
	;; [unrolled: 2-line block ×12, first 2 shown]
.long 0xBF8200D1
.long 0xBF8C0F7A
.long 0xD3B24016, 0x18030116
.long 0xBF8C0F79
.long 0xD3B24016, 0x18031116
	;; [unrolled: 2-line block ×11, first 2 shown]
.long 0xBF8200AF
.long 0xBF8C0F79
.long 0xD3B24016, 0x18030116
.long 0xBF8C0F78
.long 0xD3B24016, 0x18031116
	;; [unrolled: 2-line block ×10, first 2 shown]
.long 0xBF820090
.long 0xBF8C0F78
.long 0xD3B24016, 0x18030116
.long 0xBF8C0F77
.long 0xD3B24016, 0x18031116
	;; [unrolled: 2-line block ×9, first 2 shown]
.long 0xBF820074
.long 0xBF8C0F77
.long 0xD3B24016, 0x18030116
.long 0xBF8C0F76
.long 0xD3B24016, 0x18031116
	;; [unrolled: 2-line block ×8, first 2 shown]
.long 0xBF82005B
.long 0xBF8C0F76
.long 0xD3B24016, 0x18030116
.long 0xBF8C0F75
.long 0xD3B24016, 0x18031116
	;; [unrolled: 2-line block ×7, first 2 shown]
.long 0xBF820045
.long 0xBF8C0F75
.long 0xD3B24016, 0x18030116
.long 0xBF8C0F74
.long 0xD3B24016, 0x18031116
	;; [unrolled: 2-line block ×6, first 2 shown]
.long 0xBF820032
.long 0xBF8C0F74
.long 0xD3B24016, 0x18030116
.long 0xBF8C0F73
.long 0xD3B24016, 0x18031116
	;; [unrolled: 2-line block ×5, first 2 shown]
.long 0xBF820022
.long 0xBF8C0F73
.long 0xD3B24016, 0x18030116
.long 0xBF8C0F72
.long 0xD3B24016, 0x18031116
	;; [unrolled: 2-line block ×4, first 2 shown]
.long 0xBF820015
.long 0xBF8C0F72
.long 0xD3B24016, 0x18030116
.long 0xBF8C0F71
.long 0xD3B24016, 0x18031116
	;; [unrolled: 2-line block ×3, first 2 shown]
.long 0xBF82000B
.long 0xBF8C0F71
.long 0xD3B24016, 0x18030116
.long 0xBF8C0F70
.long 0xD3B24016, 0x18031116
.long 0xBF820004
.long 0xBF8C0F70
.long 0xD3B24016, 0x18030116
.long 0xBF820000
.long 0x0A202030
	;; [unrolled: 1-line block ×9, first 2 shown]
.long 0xD0CC0038, 0x0001004A
.long 0xD100000E, 0x00E21CF2
.long 0xD100000F, 0x00E21EF2
.long 0xD3B14010, 0x1802210E
.long 0xD3B24010, 0x1802210C
.long 0x0A0820FF, 0x3D372713
.long 0xD1CB0004, 0x03CA0910
.long 0x0A080910
.long 0x0A0808FF, 0x40135761
.long 0x7E084104
.long 0xBF800000
	;; [unrolled: 1-line block ×5, first 2 shown]
.long 0xD1CB0004, 0x03D208F5
.long 0x0A080910
.long 0x0A0808F0
	;; [unrolled: 1-line block ×3, first 2 shown]
.long 0x0A0822FF, 0x3D372713
.long 0xD1CB0004, 0x03CA0911
.long 0x0A080911
.long 0x0A0808FF, 0x40135761
.long 0x7E084104
.long 0xBF800000
.long 0x020808F2
.long 0x7E084504
.long 0xBF800000
.long 0xD1CB0004, 0x03D208F5
.long 0x0A080911
.long 0x0A0808F0
	;; [unrolled: 1-line block ×5, first 2 shown]
.long 0xD2A00010, 0x00022310
.long 0xE070D000, 0x80141007
.long 0xBF800000
.long 0xD0CC0038, 0x0001004A
.long 0xD100000E, 0x00E21CF2
.long 0xD100000F, 0x00E21EF2
.long 0xD3B14012, 0x1802250E
.long 0xD3B24012, 0x1802250C
.long 0x0A0824FF, 0x3D372713
.long 0xD1CB0004, 0x03CA0912
.long 0x0A080912
.long 0x0A0808FF, 0x40135761
.long 0x7E084104
.long 0xBF800000
.long 0x020808F2
.long 0x7E084504
.long 0xBF800000
.long 0xD1CB0004, 0x03D208F5
.long 0x0A080912
.long 0x0A0808F0
.long 0x0A24083E
.long 0x0A0826FF, 0x3D372713
.long 0xD1CB0004, 0x03CA0913
.long 0x0A080913
.long 0x0A0808FF, 0x40135761
.long 0x7E084104
.long 0xBF800000
.long 0x020808F2
.long 0x7E084504
.long 0xBF800000
.long 0xD1CB0004, 0x03D208F5
.long 0x0A080913
.long 0x0A0808F0
.long 0x0A26083E
.long 0x7E241512
.long 0x7E261513
.long 0xD2A00012, 0x00022712
.long 0x8E428128
.long 0x80504250
.long 0x82518051
.long 0xE070D000, 0x80141207
.long 0xBF800000
.long 0xD0CC0038, 0x0001004A
.long 0xD100000E, 0x00E21CF2
.long 0xD100000F, 0x00E21EF2
.long 0xD3B14014, 0x1802290E
.long 0xD3B24014, 0x1802290C
.long 0x0A0828FF, 0x3D372713
.long 0xD1CB0004, 0x03CA0914
.long 0x0A080914
.long 0x0A0808FF, 0x40135761
.long 0x7E084104
.long 0xBF800000
.long 0x020808F2
.long 0x7E084504
.long 0xBF800000
.long 0xD1CB0004, 0x03D208F5
.long 0x0A080914
.long 0x0A0808F0
.long 0x0A28083E
.long 0x0A082AFF, 0x3D372713
.long 0xD1CB0004, 0x03CA0915
.long 0x0A080915
.long 0x0A0808FF, 0x40135761
.long 0x7E084104
.long 0xBF800000
.long 0x020808F2
.long 0x7E084504
.long 0xBF800000
.long 0xD1CB0004, 0x03D208F5
.long 0x0A080915
.long 0x0A0808F0
.long 0x0A2A083E
.long 0x7E281514
.long 0x7E2A1515
.long 0xD2A00014, 0x00022B14
.long 0x8E428128
.long 0x80504250
.long 0x82518051
	;; [unrolled: 39-line block ×3, first 2 shown]
.long 0xE070D000, 0x80141607
.long 0xBF800000
.long 0xBF800000
	;; [unrolled: 1-line block ×3, first 2 shown]
.long 0x815684FF, 0x0004D670
.long 0x80545654
.long 0x82558055
	;; [unrolled: 1-line block ×22, first 2 shown]
.long 0x815684FF, 0x00016CB8
.long 0x80545654
.long 0x82558055
	;; [unrolled: 1-line block ×3, first 2 shown]
.long 0x7E4402FF, 0x80000000
.long 0xD0C90054, 0x00003900
	;; [unrolled: 1-line block ×3, first 2 shown]
.long 0x86D85854
.long 0x925402FF, 0x00000080
.long 0xD1350008, 0x0000A900
.long 0x24101082
.long 0xD1000008, 0x01621122
.long 0xBF8CC07F
.long 0xBF8A0000
.long 0xD8EC0000, 0x0A000008
.long 0x24120082
.long 0xE0541000, 0x80120C09
.long 0xD1FE0006, 0x020A0103
	;; [unrolled: 1-line block ×10, first 2 shown]
.long 0x86D85854
.long 0x925402FF, 0x00000080
.long 0xD1350012, 0x0000A900
.long 0x24242482
.long 0xD1000012, 0x01622522
.long 0x24260082
.long 0xD1FE0010, 0x020A0103
.long 0xD1000010, 0x01622122
.long 0xD1FE0011, 0x02060103
.long 0xD1000011, 0x01622322
.long 0xD1196A01, 0x00010301
.long 0xD1340002, 0x00005502
.long 0xD1340003, 0x00005103
.long 0xD0C90054, 0x00003900
.long 0xD0C90058, 0x00003B01
.long 0x86D85854
.long 0x925402FF, 0x00000080
.long 0xD1350018, 0x0000A900
.long 0x24303082
.long 0xD1000018, 0x01623122
.long 0x24320082
.long 0xD1FE0016, 0x020A0103
.long 0xD1000016, 0x01622D22
.long 0xD1FE0017, 0x02060103
.long 0xD1000017, 0x01622F22
.long 0xD1196A01, 0x00010301
.long 0xD1340002, 0x00005502
.long 0xD1340003, 0x00005103
.long 0xD0C90054, 0x00003900
.long 0xD0C90058, 0x00003B01
	;; [unrolled: 15-line block ×3, first 2 shown]
.long 0xD3D8401B, 0x18000106
.long 0xD3D84020, 0x18000103
	;; [unrolled: 1-line block ×3, first 2 shown]
.long 0xBF800001
.long 0xE074D000, 0x80030E06
.long 0xE074D000, 0x80031410
	;; [unrolled: 1-line block ×4, first 2 shown]
.long 0xBF800000
.long 0x92421415
	;; [unrolled: 1-line block ×16, first 2 shown]
.long 0xC2330CCC, 0x00000000
.long 0x965F811C
.long 0x925E811C
	;; [unrolled: 1-line block ×15, first 2 shown]
.long 0x7E4402FF, 0x80000000
.long 0xBEE00016
.long 0xBEE10017
	;; [unrolled: 1-line block ×7, first 2 shown]
.long 0xE054D000, 0x80180E06
.long 0xBE850032
.long 0x81858105
	;; [unrolled: 1-line block ×6, first 2 shown]
.long 0xE054D000, 0x80188006
.long 0x81858105
.long 0x80605A60
.long 0x82615B61
.long 0xBF008005
.long 0xBF850276
.long 0xE054D000, 0x80188806
.long 0x81858105
.long 0x80605A60
.long 0x82615B61
.long 0xBF008005
.long 0xBF850268
	;; [unrolled: 6-line block ×14, first 2 shown]
.long 0xE054D000, 0x8018F006
.long 0xBF8C0F7E
.long 0xD3B2400E, 0x1803010E
.long 0x81858105
.long 0xBF05CE05
.long 0xBF850217
.long 0x80605A60
.long 0x82615B61
.long 0xD0C6005C, 0x00000A80
.long 0xD1000023, 0x01724506
.long 0xE054D000, 0x80188023
.long 0xBF8C0F7E
.long 0xD3B2400E, 0x1803110E
.long 0x81858105
.long 0xBF05CE05
.long 0xBF850209
.long 0x80605A60
.long 0x82615B61
.long 0xD0C6005C, 0x00000A80
.long 0xD1000023, 0x01724506
	;; [unrolled: 10-line block ×15, first 2 shown]
.long 0xE054D000, 0x8018F023
.long 0xBF02CE05
.long 0xBF85FF2C
.long 0xBF8C0F7D
.long 0xD3B2400E, 0x1803010E
.long 0xBF8C0F7C
.long 0xD3B2400E, 0x1803110E
.long 0xBF8C0F7B
	;; [unrolled: 2-line block ×14, first 2 shown]
.long 0xBF8C0F7C
.long 0xD3B2400E, 0x1803010E
.long 0xBF8C0F7B
.long 0xD3B2400E, 0x1803110E
	;; [unrolled: 2-line block ×13, first 2 shown]
.long 0xBF8200F6
.long 0xBF8C0F7B
.long 0xD3B2400E, 0x1803010E
.long 0xBF8C0F7A
.long 0xD3B2400E, 0x1803110E
	;; [unrolled: 2-line block ×12, first 2 shown]
.long 0xBF8200D1
.long 0xBF8C0F7A
.long 0xD3B2400E, 0x1803010E
.long 0xBF8C0F79
.long 0xD3B2400E, 0x1803110E
	;; [unrolled: 2-line block ×11, first 2 shown]
.long 0xBF8200AF
.long 0xBF8C0F79
.long 0xD3B2400E, 0x1803010E
.long 0xBF8C0F78
.long 0xD3B2400E, 0x1803110E
	;; [unrolled: 2-line block ×10, first 2 shown]
.long 0xBF820090
.long 0xBF8C0F78
.long 0xD3B2400E, 0x1803010E
.long 0xBF8C0F77
.long 0xD3B2400E, 0x1803110E
	;; [unrolled: 2-line block ×9, first 2 shown]
.long 0xBF820074
.long 0xBF8C0F77
.long 0xD3B2400E, 0x1803010E
.long 0xBF8C0F76
.long 0xD3B2400E, 0x1803110E
	;; [unrolled: 2-line block ×8, first 2 shown]
.long 0xBF82005B
.long 0xBF8C0F76
.long 0xD3B2400E, 0x1803010E
.long 0xBF8C0F75
.long 0xD3B2400E, 0x1803110E
	;; [unrolled: 2-line block ×7, first 2 shown]
.long 0xBF820045
.long 0xBF8C0F75
.long 0xD3B2400E, 0x1803010E
.long 0xBF8C0F74
.long 0xD3B2400E, 0x1803110E
	;; [unrolled: 2-line block ×6, first 2 shown]
.long 0xBF820032
.long 0xBF8C0F74
.long 0xD3B2400E, 0x1803010E
.long 0xBF8C0F73
.long 0xD3B2400E, 0x1803110E
	;; [unrolled: 2-line block ×5, first 2 shown]
.long 0xBF820022
.long 0xBF8C0F73
.long 0xD3B2400E, 0x1803010E
.long 0xBF8C0F72
.long 0xD3B2400E, 0x1803110E
	;; [unrolled: 2-line block ×4, first 2 shown]
.long 0xBF820015
.long 0xBF8C0F72
.long 0xD3B2400E, 0x1803010E
.long 0xBF8C0F71
.long 0xD3B2400E, 0x1803110E
	;; [unrolled: 2-line block ×3, first 2 shown]
.long 0xBF82000B
.long 0xBF8C0F71
.long 0xD3B2400E, 0x1803010E
.long 0xBF8C0F70
.long 0xD3B2400E, 0x1803110E
.long 0xBF820004
.long 0xBF8C0F70
.long 0xD3B2400E, 0x1803010E
.long 0xBF820000
.long 0x7E4402FF, 0x80000000
.long 0xBEE00016
.long 0xBEE10017
	;; [unrolled: 1-line block ×4, first 2 shown]
.long 0xE054D000, 0x80181410
.long 0xBE850032
.long 0x81858105
	;; [unrolled: 1-line block ×6, first 2 shown]
.long 0xE054D000, 0x80188010
.long 0x81858105
.long 0x80605A60
.long 0x82615B61
.long 0xBF008005
.long 0xBF850276
.long 0xE054D000, 0x80188810
.long 0x81858105
.long 0x80605A60
.long 0x82615B61
.long 0xBF008005
.long 0xBF850268
	;; [unrolled: 6-line block ×14, first 2 shown]
.long 0xE054D000, 0x8018F010
.long 0xBF8C0F7E
.long 0xD3B24014, 0x18030114
.long 0x81858105
.long 0xBF05CE05
.long 0xBF850217
.long 0x80605A60
.long 0x82615B61
.long 0xD0C6005C, 0x00000A80
.long 0xD1000023, 0x01724510
.long 0xE054D000, 0x80188023
.long 0xBF8C0F7E
.long 0xD3B24014, 0x18031114
.long 0x81858105
.long 0xBF05CE05
.long 0xBF850209
.long 0x80605A60
.long 0x82615B61
.long 0xD0C6005C, 0x00000A80
.long 0xD1000023, 0x01724510
	;; [unrolled: 10-line block ×15, first 2 shown]
.long 0xE054D000, 0x8018F023
.long 0xBF02CE05
.long 0xBF85FF2C
	;; [unrolled: 1-line block ×3, first 2 shown]
.long 0xD3B24014, 0x18030114
.long 0xBF8C0F7C
.long 0xD3B24014, 0x18031114
.long 0xBF8C0F7B
	;; [unrolled: 2-line block ×14, first 2 shown]
.long 0xBF8C0F7C
.long 0xD3B24014, 0x18030114
.long 0xBF8C0F7B
.long 0xD3B24014, 0x18031114
	;; [unrolled: 2-line block ×13, first 2 shown]
.long 0xBF8200F6
.long 0xBF8C0F7B
.long 0xD3B24014, 0x18030114
.long 0xBF8C0F7A
.long 0xD3B24014, 0x18031114
	;; [unrolled: 2-line block ×12, first 2 shown]
.long 0xBF8200D1
.long 0xBF8C0F7A
.long 0xD3B24014, 0x18030114
.long 0xBF8C0F79
.long 0xD3B24014, 0x18031114
	;; [unrolled: 2-line block ×11, first 2 shown]
.long 0xBF8200AF
.long 0xBF8C0F79
.long 0xD3B24014, 0x18030114
.long 0xBF8C0F78
.long 0xD3B24014, 0x18031114
	;; [unrolled: 2-line block ×10, first 2 shown]
.long 0xBF820090
.long 0xBF8C0F78
.long 0xD3B24014, 0x18030114
.long 0xBF8C0F77
.long 0xD3B24014, 0x18031114
	;; [unrolled: 2-line block ×9, first 2 shown]
.long 0xBF820074
.long 0xBF8C0F77
.long 0xD3B24014, 0x18030114
.long 0xBF8C0F76
.long 0xD3B24014, 0x18031114
	;; [unrolled: 2-line block ×8, first 2 shown]
.long 0xBF82005B
.long 0xBF8C0F76
.long 0xD3B24014, 0x18030114
.long 0xBF8C0F75
.long 0xD3B24014, 0x18031114
	;; [unrolled: 2-line block ×7, first 2 shown]
.long 0xBF820045
.long 0xBF8C0F75
.long 0xD3B24014, 0x18030114
.long 0xBF8C0F74
.long 0xD3B24014, 0x18031114
	;; [unrolled: 2-line block ×6, first 2 shown]
.long 0xBF820032
.long 0xBF8C0F74
.long 0xD3B24014, 0x18030114
.long 0xBF8C0F73
.long 0xD3B24014, 0x18031114
	;; [unrolled: 2-line block ×5, first 2 shown]
.long 0xBF820022
.long 0xBF8C0F73
.long 0xD3B24014, 0x18030114
.long 0xBF8C0F72
.long 0xD3B24014, 0x18031114
.long 0xBF8C0F71
.long 0xD3B24014, 0x18032114
.long 0xBF8C0F70
.long 0xD3B24014, 0x18033114
.long 0xBF820015
.long 0xBF8C0F72
.long 0xD3B24014, 0x18030114
.long 0xBF8C0F71
.long 0xD3B24014, 0x18031114
	;; [unrolled: 2-line block ×3, first 2 shown]
.long 0xBF82000B
.long 0xBF8C0F71
.long 0xD3B24014, 0x18030114
.long 0xBF8C0F70
.long 0xD3B24014, 0x18031114
.long 0xBF820004
.long 0xBF8C0F70
.long 0xD3B24014, 0x18030114
.long 0xBF820000
.long 0x7E4402FF, 0x80000000
.long 0xBEE00016
.long 0xBEE10017
	;; [unrolled: 1-line block ×4, first 2 shown]
.long 0xE054D000, 0x80181A16
.long 0xBE850032
.long 0x81858105
	;; [unrolled: 1-line block ×6, first 2 shown]
.long 0xE054D000, 0x80188016
.long 0x81858105
.long 0x80605A60
.long 0x82615B61
.long 0xBF008005
.long 0xBF850276
.long 0xE054D000, 0x80188816
.long 0x81858105
.long 0x80605A60
.long 0x82615B61
.long 0xBF008005
.long 0xBF850268
	;; [unrolled: 6-line block ×14, first 2 shown]
.long 0xE054D000, 0x8018F016
.long 0xBF8C0F7E
.long 0xD3B2401A, 0x1803011A
.long 0x81858105
.long 0xBF05CE05
.long 0xBF850217
.long 0x80605A60
.long 0x82615B61
.long 0xD0C6005C, 0x00000A80
.long 0xD1000023, 0x01724516
.long 0xE054D000, 0x80188023
.long 0xBF8C0F7E
.long 0xD3B2401A, 0x1803111A
.long 0x81858105
.long 0xBF05CE05
.long 0xBF850209
.long 0x80605A60
.long 0x82615B61
.long 0xD0C6005C, 0x00000A80
.long 0xD1000023, 0x01724516
	;; [unrolled: 10-line block ×15, first 2 shown]
.long 0xE054D000, 0x8018F023
.long 0xBF02CE05
.long 0xBF85FF2C
	;; [unrolled: 1-line block ×3, first 2 shown]
.long 0xD3B2401A, 0x1803011A
.long 0xBF8C0F7C
.long 0xD3B2401A, 0x1803111A
.long 0xBF8C0F7B
	;; [unrolled: 2-line block ×14, first 2 shown]
.long 0xBF8C0F7C
.long 0xD3B2401A, 0x1803011A
.long 0xBF8C0F7B
.long 0xD3B2401A, 0x1803111A
	;; [unrolled: 2-line block ×13, first 2 shown]
.long 0xBF8200F6
.long 0xBF8C0F7B
.long 0xD3B2401A, 0x1803011A
.long 0xBF8C0F7A
.long 0xD3B2401A, 0x1803111A
	;; [unrolled: 2-line block ×12, first 2 shown]
.long 0xBF8200D1
.long 0xBF8C0F7A
.long 0xD3B2401A, 0x1803011A
.long 0xBF8C0F79
.long 0xD3B2401A, 0x1803111A
	;; [unrolled: 2-line block ×11, first 2 shown]
.long 0xBF8200AF
.long 0xBF8C0F79
.long 0xD3B2401A, 0x1803011A
.long 0xBF8C0F78
.long 0xD3B2401A, 0x1803111A
	;; [unrolled: 2-line block ×10, first 2 shown]
.long 0xBF820090
.long 0xBF8C0F78
.long 0xD3B2401A, 0x1803011A
.long 0xBF8C0F77
.long 0xD3B2401A, 0x1803111A
	;; [unrolled: 2-line block ×9, first 2 shown]
.long 0xBF820074
.long 0xBF8C0F77
.long 0xD3B2401A, 0x1803011A
.long 0xBF8C0F76
.long 0xD3B2401A, 0x1803111A
	;; [unrolled: 2-line block ×8, first 2 shown]
.long 0xBF82005B
.long 0xBF8C0F76
.long 0xD3B2401A, 0x1803011A
.long 0xBF8C0F75
.long 0xD3B2401A, 0x1803111A
	;; [unrolled: 2-line block ×7, first 2 shown]
.long 0xBF820045
.long 0xBF8C0F75
.long 0xD3B2401A, 0x1803011A
.long 0xBF8C0F74
.long 0xD3B2401A, 0x1803111A
	;; [unrolled: 2-line block ×6, first 2 shown]
.long 0xBF820032
.long 0xBF8C0F74
.long 0xD3B2401A, 0x1803011A
.long 0xBF8C0F73
.long 0xD3B2401A, 0x1803111A
	;; [unrolled: 2-line block ×5, first 2 shown]
.long 0xBF820022
.long 0xBF8C0F73
.long 0xD3B2401A, 0x1803011A
.long 0xBF8C0F72
.long 0xD3B2401A, 0x1803111A
	;; [unrolled: 2-line block ×4, first 2 shown]
.long 0xBF820015
.long 0xBF8C0F72
.long 0xD3B2401A, 0x1803011A
.long 0xBF8C0F71
.long 0xD3B2401A, 0x1803111A
	;; [unrolled: 2-line block ×3, first 2 shown]
.long 0xBF82000B
.long 0xBF8C0F71
.long 0xD3B2401A, 0x1803011A
.long 0xBF8C0F70
.long 0xD3B2401A, 0x1803111A
.long 0xBF820004
.long 0xBF8C0F70
.long 0xD3B2401A, 0x1803011A
.long 0xBF820000
.long 0x7E4402FF, 0x80000000
.long 0xBEE00016
.long 0xBEE10017
	;; [unrolled: 1-line block ×4, first 2 shown]
.long 0xE054D000, 0x8018201C
.long 0xBE850032
.long 0x81858105
	;; [unrolled: 1-line block ×6, first 2 shown]
.long 0xE054D000, 0x8018801C
.long 0x81858105
.long 0x80605A60
.long 0x82615B61
.long 0xBF008005
.long 0xBF850276
.long 0xE054D000, 0x8018881C
.long 0x81858105
.long 0x80605A60
.long 0x82615B61
.long 0xBF008005
.long 0xBF850268
	;; [unrolled: 6-line block ×14, first 2 shown]
.long 0xE054D000, 0x8018F01C
.long 0xBF8C0F7E
.long 0xD3B24020, 0x18030120
.long 0x81858105
.long 0xBF05CE05
.long 0xBF850217
.long 0x80605A60
.long 0x82615B61
.long 0xD0C6005C, 0x00000A80
.long 0xD1000023, 0x0172451C
.long 0xE054D000, 0x80188023
.long 0xBF8C0F7E
.long 0xD3B24020, 0x18031120
.long 0x81858105
.long 0xBF05CE05
.long 0xBF850209
.long 0x80605A60
.long 0x82615B61
.long 0xD0C6005C, 0x00000A80
.long 0xD1000023, 0x0172451C
	;; [unrolled: 10-line block ×15, first 2 shown]
.long 0xE054D000, 0x8018F023
.long 0xBF02CE05
.long 0xBF85FF2C
	;; [unrolled: 1-line block ×3, first 2 shown]
.long 0xD3B24020, 0x18030120
.long 0xBF8C0F7C
.long 0xD3B24020, 0x18031120
.long 0xBF8C0F7B
	;; [unrolled: 2-line block ×14, first 2 shown]
.long 0xBF8C0F7C
.long 0xD3B24020, 0x18030120
.long 0xBF8C0F7B
.long 0xD3B24020, 0x18031120
.long 0xBF8C0F7A
.long 0xD3B24020, 0x18032120
.long 0xBF8C0F79
.long 0xD3B24020, 0x18033120
.long 0xBF8C0F78
.long 0xD3B24020, 0x18034120
.long 0xBF8C0F77
.long 0xD3B24020, 0x18035120
.long 0xBF8C0F76
.long 0xD3B24020, 0x18036120
.long 0xBF8C0F75
.long 0xD3B24020, 0x18037120
.long 0xBF8C0F74
.long 0xD3B24020, 0x18038120
.long 0xBF8C0F73
.long 0xD3B24020, 0x18039120
.long 0xBF8C0F72
.long 0xD3B24020, 0x1803A120
.long 0xBF8C0F71
.long 0xD3B24020, 0x1803B120
.long 0xBF8C0F70
.long 0xD3B24020, 0x1803C120
.long 0xBF8200F6
.long 0xBF8C0F7B
.long 0xD3B24020, 0x18030120
.long 0xBF8C0F7A
.long 0xD3B24020, 0x18031120
	;; [unrolled: 2-line block ×12, first 2 shown]
.long 0xBF8200D1
.long 0xBF8C0F7A
.long 0xD3B24020, 0x18030120
.long 0xBF8C0F79
.long 0xD3B24020, 0x18031120
	;; [unrolled: 2-line block ×11, first 2 shown]
.long 0xBF8200AF
.long 0xBF8C0F79
.long 0xD3B24020, 0x18030120
.long 0xBF8C0F78
.long 0xD3B24020, 0x18031120
	;; [unrolled: 2-line block ×10, first 2 shown]
.long 0xBF820090
.long 0xBF8C0F78
.long 0xD3B24020, 0x18030120
.long 0xBF8C0F77
.long 0xD3B24020, 0x18031120
	;; [unrolled: 2-line block ×9, first 2 shown]
.long 0xBF820074
.long 0xBF8C0F77
.long 0xD3B24020, 0x18030120
.long 0xBF8C0F76
.long 0xD3B24020, 0x18031120
	;; [unrolled: 2-line block ×8, first 2 shown]
.long 0xBF82005B
.long 0xBF8C0F76
.long 0xD3B24020, 0x18030120
.long 0xBF8C0F75
.long 0xD3B24020, 0x18031120
	;; [unrolled: 2-line block ×7, first 2 shown]
.long 0xBF820045
.long 0xBF8C0F75
.long 0xD3B24020, 0x18030120
.long 0xBF8C0F74
.long 0xD3B24020, 0x18031120
	;; [unrolled: 2-line block ×6, first 2 shown]
.long 0xBF820032
.long 0xBF8C0F74
.long 0xD3B24020, 0x18030120
.long 0xBF8C0F73
.long 0xD3B24020, 0x18031120
	;; [unrolled: 2-line block ×5, first 2 shown]
.long 0xBF820022
.long 0xBF8C0F73
.long 0xD3B24020, 0x18030120
.long 0xBF8C0F72
.long 0xD3B24020, 0x18031120
	;; [unrolled: 2-line block ×4, first 2 shown]
.long 0xBF820015
.long 0xBF8C0F72
.long 0xD3B24020, 0x18030120
.long 0xBF8C0F71
.long 0xD3B24020, 0x18031120
	;; [unrolled: 2-line block ×3, first 2 shown]
.long 0xBF82000B
.long 0xBF8C0F71
.long 0xD3B24020, 0x18030120
.long 0xBF8C0F70
.long 0xD3B24020, 0x18031120
.long 0xBF820004
.long 0xBF8C0F70
.long 0xD3B24020, 0x18030120
.long 0xBF820000
.long 0x0A1C1C30
	;; [unrolled: 1-line block ×10, first 2 shown]
.long 0xD0CC0038, 0x0001004A
.long 0xD100000C, 0x00E218F2
.long 0xD100000D, 0x00E21AF2
.long 0xD3B1400E, 0x18021D0C
.long 0xD3B2400E, 0x18021D0A
.long 0x7E1C150E
.long 0x7E1E150F
.long 0xD2A0000E, 0x00021F0E
.long 0xE070D000, 0x80140E07
.long 0xBF800000
.long 0xD0CC0038, 0x0001004A
.long 0xD100000C, 0x00E218F2
.long 0xD100000D, 0x00E21AF2
.long 0xD3B14014, 0x1802290C
.long 0xD3B24014, 0x1802290A
.long 0x7E281514
.long 0x7E2A1515
.long 0xD2A00014, 0x00022B14
.long 0xE070D000, 0x80141411
.long 0xBF800000
	;; [unrolled: 10-line block ×4, first 2 shown]
.long 0xBF800000
.long 0xBED41C00
.long 0x815684FF, 0x00016EC0
.long 0x80545654
.long 0x82558055
	;; [unrolled: 1-line block ×3, first 2 shown]
.long 0x7E4402FF, 0x80000000
.long 0xD0C90054, 0x00003900
	;; [unrolled: 1-line block ×3, first 2 shown]
.long 0x86D85854
.long 0x925402FF, 0x00000080
.long 0xD1350008, 0x0000A900
.long 0x24101082
.long 0xD1000008, 0x01621122
.long 0xBF8CC07F
.long 0xBF8A0000
.long 0xD8EC0000, 0x0A000008
.long 0x24120082
.long 0xE0541000, 0x80120C09
.long 0xD1FE0006, 0x020A0103
	;; [unrolled: 1-line block ×10, first 2 shown]
.long 0x86D85854
.long 0x925402FF, 0x00000080
.long 0xD1350012, 0x0000A900
.long 0x24242482
.long 0xD1000012, 0x01622522
.long 0x24260082
.long 0xD1FE0010, 0x020A0103
.long 0xD1000010, 0x01622122
.long 0xD1FE0011, 0x02060103
.long 0xD1000011, 0x01622322
.long 0xD1196A01, 0x00010301
.long 0xD1340002, 0x00005502
.long 0xD1340003, 0x00005103
.long 0xD0C90054, 0x00003900
.long 0xD0C90058, 0x00003B01
.long 0x86D85854
.long 0x925402FF, 0x00000080
.long 0xD1350018, 0x0000A900
.long 0x24303082
.long 0xD1000018, 0x01623122
.long 0x24320082
.long 0xD1FE0016, 0x020A0103
.long 0xD1000016, 0x01622D22
.long 0xD1FE0017, 0x02060103
.long 0xD1000017, 0x01622F22
.long 0xD1196A01, 0x00010301
.long 0xD1340002, 0x00005502
.long 0xD1340003, 0x00005103
.long 0xD0C90054, 0x00003900
.long 0xD0C90058, 0x00003B01
	;; [unrolled: 15-line block ×3, first 2 shown]
.long 0xD3D8401B, 0x18000106
.long 0xD3D84020, 0x18000103
	;; [unrolled: 1-line block ×3, first 2 shown]
.long 0xBF800001
.long 0xE074D000, 0x80030E06
.long 0xE074D000, 0x80031410
	;; [unrolled: 1-line block ×4, first 2 shown]
.long 0xBF800000
.long 0x92421415
.long 0x92330442
.long 0x92411403
.long 0x80410241
.long 0x80413341
.long 0x7E660534
.long 0x92421E42
.long 0x8F338633
.long 0x92333342
.long 0x80414133
.long 0x8E418241
.long 0x80184146
.long 0x82198047
.long 0xBF8C0000
.long 0x80B38132
.long 0xC2330CCC, 0x00000000
.long 0x965F811C
.long 0x925E811C
	;; [unrolled: 1-line block ×15, first 2 shown]
.long 0x7E4402FF, 0x80000000
.long 0xBEE00016
.long 0xBEE10017
	;; [unrolled: 1-line block ×7, first 2 shown]
.long 0xE054D000, 0x80180E06
.long 0xBE850032
.long 0x81858105
	;; [unrolled: 1-line block ×6, first 2 shown]
.long 0xE054D000, 0x80188006
.long 0x81858105
.long 0x80605A60
.long 0x82615B61
.long 0xBF008005
.long 0xBF850276
.long 0xE054D000, 0x80188806
.long 0x81858105
.long 0x80605A60
.long 0x82615B61
.long 0xBF008005
.long 0xBF850268
	;; [unrolled: 6-line block ×14, first 2 shown]
.long 0xE054D000, 0x8018F006
.long 0xBF8C0F7E
.long 0xD3B2400E, 0x1803010E
.long 0x81858105
.long 0xBF05CE05
.long 0xBF850217
.long 0x80605A60
.long 0x82615B61
.long 0xD0C6005C, 0x00000A80
.long 0xD1000023, 0x01724506
.long 0xE054D000, 0x80188023
.long 0xBF8C0F7E
.long 0xD3B2400E, 0x1803110E
.long 0x81858105
.long 0xBF05CE05
.long 0xBF850209
.long 0x80605A60
.long 0x82615B61
.long 0xD0C6005C, 0x00000A80
.long 0xD1000023, 0x01724506
	;; [unrolled: 10-line block ×15, first 2 shown]
.long 0xE054D000, 0x8018F023
.long 0xBF02CE05
.long 0xBF85FF2C
	;; [unrolled: 1-line block ×3, first 2 shown]
.long 0xD3B2400E, 0x1803010E
.long 0xBF8C0F7C
.long 0xD3B2400E, 0x1803110E
.long 0xBF8C0F7B
	;; [unrolled: 2-line block ×14, first 2 shown]
.long 0xBF8C0F7C
.long 0xD3B2400E, 0x1803010E
.long 0xBF8C0F7B
.long 0xD3B2400E, 0x1803110E
	;; [unrolled: 2-line block ×13, first 2 shown]
.long 0xBF8200F6
.long 0xBF8C0F7B
.long 0xD3B2400E, 0x1803010E
.long 0xBF8C0F7A
.long 0xD3B2400E, 0x1803110E
	;; [unrolled: 2-line block ×12, first 2 shown]
.long 0xBF8200D1
.long 0xBF8C0F7A
.long 0xD3B2400E, 0x1803010E
.long 0xBF8C0F79
.long 0xD3B2400E, 0x1803110E
	;; [unrolled: 2-line block ×11, first 2 shown]
.long 0xBF8200AF
.long 0xBF8C0F79
.long 0xD3B2400E, 0x1803010E
.long 0xBF8C0F78
.long 0xD3B2400E, 0x1803110E
	;; [unrolled: 2-line block ×10, first 2 shown]
.long 0xBF820090
.long 0xBF8C0F78
.long 0xD3B2400E, 0x1803010E
.long 0xBF8C0F77
.long 0xD3B2400E, 0x1803110E
	;; [unrolled: 2-line block ×9, first 2 shown]
.long 0xBF820074
.long 0xBF8C0F77
.long 0xD3B2400E, 0x1803010E
.long 0xBF8C0F76
.long 0xD3B2400E, 0x1803110E
	;; [unrolled: 2-line block ×8, first 2 shown]
.long 0xBF82005B
.long 0xBF8C0F76
.long 0xD3B2400E, 0x1803010E
.long 0xBF8C0F75
.long 0xD3B2400E, 0x1803110E
	;; [unrolled: 2-line block ×7, first 2 shown]
.long 0xBF820045
.long 0xBF8C0F75
.long 0xD3B2400E, 0x1803010E
.long 0xBF8C0F74
.long 0xD3B2400E, 0x1803110E
	;; [unrolled: 2-line block ×6, first 2 shown]
.long 0xBF820032
.long 0xBF8C0F74
.long 0xD3B2400E, 0x1803010E
.long 0xBF8C0F73
.long 0xD3B2400E, 0x1803110E
	;; [unrolled: 2-line block ×5, first 2 shown]
.long 0xBF820022
.long 0xBF8C0F73
.long 0xD3B2400E, 0x1803010E
.long 0xBF8C0F72
.long 0xD3B2400E, 0x1803110E
	;; [unrolled: 2-line block ×4, first 2 shown]
.long 0xBF820015
.long 0xBF8C0F72
.long 0xD3B2400E, 0x1803010E
.long 0xBF8C0F71
.long 0xD3B2400E, 0x1803110E
	;; [unrolled: 2-line block ×3, first 2 shown]
.long 0xBF82000B
.long 0xBF8C0F71
.long 0xD3B2400E, 0x1803010E
.long 0xBF8C0F70
.long 0xD3B2400E, 0x1803110E
.long 0xBF820004
.long 0xBF8C0F70
.long 0xD3B2400E, 0x1803010E
.long 0xBF820000
.long 0x7E4402FF, 0x80000000
.long 0xBEE00016
.long 0xBEE10017
	;; [unrolled: 1-line block ×4, first 2 shown]
.long 0xE054D000, 0x80181410
.long 0xBE850032
.long 0x81858105
	;; [unrolled: 1-line block ×6, first 2 shown]
.long 0xE054D000, 0x80188010
.long 0x81858105
.long 0x80605A60
.long 0x82615B61
.long 0xBF008005
.long 0xBF850276
.long 0xE054D000, 0x80188810
.long 0x81858105
.long 0x80605A60
.long 0x82615B61
.long 0xBF008005
.long 0xBF850268
	;; [unrolled: 6-line block ×14, first 2 shown]
.long 0xE054D000, 0x8018F010
.long 0xBF8C0F7E
.long 0xD3B24014, 0x18030114
.long 0x81858105
.long 0xBF05CE05
.long 0xBF850217
.long 0x80605A60
.long 0x82615B61
.long 0xD0C6005C, 0x00000A80
.long 0xD1000023, 0x01724510
.long 0xE054D000, 0x80188023
.long 0xBF8C0F7E
.long 0xD3B24014, 0x18031114
.long 0x81858105
.long 0xBF05CE05
.long 0xBF850209
.long 0x80605A60
.long 0x82615B61
.long 0xD0C6005C, 0x00000A80
.long 0xD1000023, 0x01724510
	;; [unrolled: 10-line block ×15, first 2 shown]
.long 0xE054D000, 0x8018F023
.long 0xBF02CE05
.long 0xBF85FF2C
	;; [unrolled: 1-line block ×3, first 2 shown]
.long 0xD3B24014, 0x18030114
.long 0xBF8C0F7C
.long 0xD3B24014, 0x18031114
.long 0xBF8C0F7B
.long 0xD3B24014, 0x18032114
.long 0xBF8C0F7A
.long 0xD3B24014, 0x18033114
.long 0xBF8C0F79
.long 0xD3B24014, 0x18034114
.long 0xBF8C0F78
.long 0xD3B24014, 0x18035114
.long 0xBF8C0F77
.long 0xD3B24014, 0x18036114
.long 0xBF8C0F76
.long 0xD3B24014, 0x18037114
.long 0xBF8C0F75
.long 0xD3B24014, 0x18038114
.long 0xBF8C0F74
.long 0xD3B24014, 0x18039114
.long 0xBF8C0F73
.long 0xD3B24014, 0x1803A114
.long 0xBF8C0F72
.long 0xD3B24014, 0x1803B114
.long 0xBF8C0F71
.long 0xD3B24014, 0x1803C114
.long 0xBF8C0F70
.long 0xD3B24014, 0x1803D114
.long 0xBF82011E
.long 0xBF8C0F7C
.long 0xD3B24014, 0x18030114
.long 0xBF8C0F7B
.long 0xD3B24014, 0x18031114
	;; [unrolled: 2-line block ×13, first 2 shown]
.long 0xBF8200F6
.long 0xBF8C0F7B
.long 0xD3B24014, 0x18030114
.long 0xBF8C0F7A
.long 0xD3B24014, 0x18031114
	;; [unrolled: 2-line block ×12, first 2 shown]
.long 0xBF8200D1
.long 0xBF8C0F7A
.long 0xD3B24014, 0x18030114
.long 0xBF8C0F79
.long 0xD3B24014, 0x18031114
.long 0xBF8C0F78
.long 0xD3B24014, 0x18032114
.long 0xBF8C0F77
.long 0xD3B24014, 0x18033114
.long 0xBF8C0F76
.long 0xD3B24014, 0x18034114
.long 0xBF8C0F75
.long 0xD3B24014, 0x18035114
.long 0xBF8C0F74
.long 0xD3B24014, 0x18036114
.long 0xBF8C0F73
.long 0xD3B24014, 0x18037114
.long 0xBF8C0F72
.long 0xD3B24014, 0x18038114
.long 0xBF8C0F71
.long 0xD3B24014, 0x18039114
.long 0xBF8C0F70
.long 0xD3B24014, 0x1803A114
.long 0xBF8200AF
.long 0xBF8C0F79
.long 0xD3B24014, 0x18030114
.long 0xBF8C0F78
.long 0xD3B24014, 0x18031114
	;; [unrolled: 2-line block ×10, first 2 shown]
.long 0xBF820090
.long 0xBF8C0F78
.long 0xD3B24014, 0x18030114
.long 0xBF8C0F77
.long 0xD3B24014, 0x18031114
	;; [unrolled: 2-line block ×9, first 2 shown]
.long 0xBF820074
.long 0xBF8C0F77
.long 0xD3B24014, 0x18030114
.long 0xBF8C0F76
.long 0xD3B24014, 0x18031114
	;; [unrolled: 2-line block ×8, first 2 shown]
.long 0xBF82005B
.long 0xBF8C0F76
.long 0xD3B24014, 0x18030114
.long 0xBF8C0F75
.long 0xD3B24014, 0x18031114
	;; [unrolled: 2-line block ×7, first 2 shown]
.long 0xBF820045
.long 0xBF8C0F75
.long 0xD3B24014, 0x18030114
.long 0xBF8C0F74
.long 0xD3B24014, 0x18031114
	;; [unrolled: 2-line block ×6, first 2 shown]
.long 0xBF820032
.long 0xBF8C0F74
.long 0xD3B24014, 0x18030114
.long 0xBF8C0F73
.long 0xD3B24014, 0x18031114
	;; [unrolled: 2-line block ×5, first 2 shown]
.long 0xBF820022
.long 0xBF8C0F73
.long 0xD3B24014, 0x18030114
.long 0xBF8C0F72
.long 0xD3B24014, 0x18031114
	;; [unrolled: 2-line block ×4, first 2 shown]
.long 0xBF820015
.long 0xBF8C0F72
.long 0xD3B24014, 0x18030114
.long 0xBF8C0F71
.long 0xD3B24014, 0x18031114
	;; [unrolled: 2-line block ×3, first 2 shown]
.long 0xBF82000B
.long 0xBF8C0F71
.long 0xD3B24014, 0x18030114
.long 0xBF8C0F70
.long 0xD3B24014, 0x18031114
.long 0xBF820004
.long 0xBF8C0F70
.long 0xD3B24014, 0x18030114
.long 0xBF820000
.long 0x7E4402FF, 0x80000000
.long 0xBEE00016
.long 0xBEE10017
	;; [unrolled: 1-line block ×4, first 2 shown]
.long 0xE054D000, 0x80181A16
.long 0xBE850032
.long 0x81858105
	;; [unrolled: 1-line block ×6, first 2 shown]
.long 0xE054D000, 0x80188016
.long 0x81858105
.long 0x80605A60
.long 0x82615B61
.long 0xBF008005
.long 0xBF850276
.long 0xE054D000, 0x80188816
.long 0x81858105
.long 0x80605A60
.long 0x82615B61
.long 0xBF008005
.long 0xBF850268
	;; [unrolled: 6-line block ×14, first 2 shown]
.long 0xE054D000, 0x8018F016
.long 0xBF8C0F7E
.long 0xD3B2401A, 0x1803011A
.long 0x81858105
.long 0xBF05CE05
.long 0xBF850217
.long 0x80605A60
.long 0x82615B61
.long 0xD0C6005C, 0x00000A80
.long 0xD1000023, 0x01724516
.long 0xE054D000, 0x80188023
.long 0xBF8C0F7E
.long 0xD3B2401A, 0x1803111A
.long 0x81858105
.long 0xBF05CE05
.long 0xBF850209
.long 0x80605A60
.long 0x82615B61
.long 0xD0C6005C, 0x00000A80
.long 0xD1000023, 0x01724516
	;; [unrolled: 10-line block ×15, first 2 shown]
.long 0xE054D000, 0x8018F023
.long 0xBF02CE05
.long 0xBF85FF2C
	;; [unrolled: 1-line block ×3, first 2 shown]
.long 0xD3B2401A, 0x1803011A
.long 0xBF8C0F7C
.long 0xD3B2401A, 0x1803111A
.long 0xBF8C0F7B
	;; [unrolled: 2-line block ×14, first 2 shown]
.long 0xBF8C0F7C
.long 0xD3B2401A, 0x1803011A
.long 0xBF8C0F7B
.long 0xD3B2401A, 0x1803111A
	;; [unrolled: 2-line block ×13, first 2 shown]
.long 0xBF8200F6
.long 0xBF8C0F7B
.long 0xD3B2401A, 0x1803011A
.long 0xBF8C0F7A
.long 0xD3B2401A, 0x1803111A
	;; [unrolled: 2-line block ×12, first 2 shown]
.long 0xBF8200D1
.long 0xBF8C0F7A
.long 0xD3B2401A, 0x1803011A
.long 0xBF8C0F79
.long 0xD3B2401A, 0x1803111A
	;; [unrolled: 2-line block ×11, first 2 shown]
.long 0xBF8200AF
.long 0xBF8C0F79
.long 0xD3B2401A, 0x1803011A
.long 0xBF8C0F78
.long 0xD3B2401A, 0x1803111A
	;; [unrolled: 2-line block ×10, first 2 shown]
.long 0xBF820090
.long 0xBF8C0F78
.long 0xD3B2401A, 0x1803011A
.long 0xBF8C0F77
.long 0xD3B2401A, 0x1803111A
	;; [unrolled: 2-line block ×9, first 2 shown]
.long 0xBF820074
.long 0xBF8C0F77
.long 0xD3B2401A, 0x1803011A
.long 0xBF8C0F76
.long 0xD3B2401A, 0x1803111A
	;; [unrolled: 2-line block ×8, first 2 shown]
.long 0xBF82005B
.long 0xBF8C0F76
.long 0xD3B2401A, 0x1803011A
.long 0xBF8C0F75
.long 0xD3B2401A, 0x1803111A
.long 0xBF8C0F74
.long 0xD3B2401A, 0x1803211A
.long 0xBF8C0F73
.long 0xD3B2401A, 0x1803311A
.long 0xBF8C0F72
.long 0xD3B2401A, 0x1803411A
.long 0xBF8C0F71
.long 0xD3B2401A, 0x1803511A
.long 0xBF8C0F70
.long 0xD3B2401A, 0x1803611A
.long 0xBF820045
.long 0xBF8C0F75
.long 0xD3B2401A, 0x1803011A
.long 0xBF8C0F74
.long 0xD3B2401A, 0x1803111A
	;; [unrolled: 2-line block ×6, first 2 shown]
.long 0xBF820032
.long 0xBF8C0F74
.long 0xD3B2401A, 0x1803011A
.long 0xBF8C0F73
.long 0xD3B2401A, 0x1803111A
	;; [unrolled: 2-line block ×5, first 2 shown]
.long 0xBF820022
.long 0xBF8C0F73
.long 0xD3B2401A, 0x1803011A
.long 0xBF8C0F72
.long 0xD3B2401A, 0x1803111A
	;; [unrolled: 2-line block ×4, first 2 shown]
.long 0xBF820015
.long 0xBF8C0F72
.long 0xD3B2401A, 0x1803011A
.long 0xBF8C0F71
.long 0xD3B2401A, 0x1803111A
	;; [unrolled: 2-line block ×3, first 2 shown]
.long 0xBF82000B
.long 0xBF8C0F71
.long 0xD3B2401A, 0x1803011A
.long 0xBF8C0F70
.long 0xD3B2401A, 0x1803111A
.long 0xBF820004
.long 0xBF8C0F70
.long 0xD3B2401A, 0x1803011A
.long 0xBF820000
.long 0x7E4402FF, 0x80000000
.long 0xBEE00016
.long 0xBEE10017
	;; [unrolled: 1-line block ×4, first 2 shown]
.long 0xE054D000, 0x8018201C
.long 0xBE850032
.long 0x81858105
.long 0x80605A60
.long 0x82615B61
.long 0xBF008005
.long 0xBF850281
.long 0xE054D000, 0x8018801C
.long 0x81858105
.long 0x80605A60
.long 0x82615B61
.long 0xBF008005
.long 0xBF850276
.long 0xE054D000, 0x8018881C
.long 0x81858105
.long 0x80605A60
.long 0x82615B61
.long 0xBF008005
.long 0xBF850268
	;; [unrolled: 6-line block ×14, first 2 shown]
.long 0xE054D000, 0x8018F01C
.long 0xBF8C0F7E
.long 0xD3B24020, 0x18030120
.long 0x81858105
.long 0xBF05CE05
.long 0xBF850217
.long 0x80605A60
.long 0x82615B61
.long 0xD0C6005C, 0x00000A80
.long 0xD1000023, 0x0172451C
.long 0xE054D000, 0x80188023
.long 0xBF8C0F7E
.long 0xD3B24020, 0x18031120
.long 0x81858105
.long 0xBF05CE05
.long 0xBF850209
.long 0x80605A60
.long 0x82615B61
.long 0xD0C6005C, 0x00000A80
.long 0xD1000023, 0x0172451C
	;; [unrolled: 10-line block ×15, first 2 shown]
.long 0xE054D000, 0x8018F023
.long 0xBF02CE05
.long 0xBF85FF2C
	;; [unrolled: 1-line block ×3, first 2 shown]
.long 0xD3B24020, 0x18030120
.long 0xBF8C0F7C
.long 0xD3B24020, 0x18031120
.long 0xBF8C0F7B
	;; [unrolled: 2-line block ×14, first 2 shown]
.long 0xBF8C0F7C
.long 0xD3B24020, 0x18030120
.long 0xBF8C0F7B
.long 0xD3B24020, 0x18031120
	;; [unrolled: 2-line block ×13, first 2 shown]
.long 0xBF8200F6
.long 0xBF8C0F7B
.long 0xD3B24020, 0x18030120
.long 0xBF8C0F7A
.long 0xD3B24020, 0x18031120
	;; [unrolled: 2-line block ×12, first 2 shown]
.long 0xBF8200D1
.long 0xBF8C0F7A
.long 0xD3B24020, 0x18030120
.long 0xBF8C0F79
.long 0xD3B24020, 0x18031120
	;; [unrolled: 2-line block ×11, first 2 shown]
.long 0xBF8200AF
.long 0xBF8C0F79
.long 0xD3B24020, 0x18030120
.long 0xBF8C0F78
.long 0xD3B24020, 0x18031120
	;; [unrolled: 2-line block ×10, first 2 shown]
.long 0xBF820090
.long 0xBF8C0F78
.long 0xD3B24020, 0x18030120
.long 0xBF8C0F77
.long 0xD3B24020, 0x18031120
	;; [unrolled: 2-line block ×9, first 2 shown]
.long 0xBF820074
.long 0xBF8C0F77
.long 0xD3B24020, 0x18030120
.long 0xBF8C0F76
.long 0xD3B24020, 0x18031120
	;; [unrolled: 2-line block ×8, first 2 shown]
.long 0xBF82005B
.long 0xBF8C0F76
.long 0xD3B24020, 0x18030120
.long 0xBF8C0F75
.long 0xD3B24020, 0x18031120
	;; [unrolled: 2-line block ×7, first 2 shown]
.long 0xBF820045
.long 0xBF8C0F75
.long 0xD3B24020, 0x18030120
.long 0xBF8C0F74
.long 0xD3B24020, 0x18031120
	;; [unrolled: 2-line block ×6, first 2 shown]
.long 0xBF820032
.long 0xBF8C0F74
.long 0xD3B24020, 0x18030120
.long 0xBF8C0F73
.long 0xD3B24020, 0x18031120
	;; [unrolled: 2-line block ×5, first 2 shown]
.long 0xBF820022
.long 0xBF8C0F73
.long 0xD3B24020, 0x18030120
.long 0xBF8C0F72
.long 0xD3B24020, 0x18031120
	;; [unrolled: 2-line block ×4, first 2 shown]
.long 0xBF820015
.long 0xBF8C0F72
.long 0xD3B24020, 0x18030120
.long 0xBF8C0F71
.long 0xD3B24020, 0x18031120
	;; [unrolled: 2-line block ×3, first 2 shown]
.long 0xBF82000B
.long 0xBF8C0F71
.long 0xD3B24020, 0x18030120
.long 0xBF8C0F70
.long 0xD3B24020, 0x18031120
.long 0xBF820004
.long 0xBF8C0F70
.long 0xD3B24020, 0x18030120
.long 0xBF820000
.long 0x0A1C1C30
	;; [unrolled: 1-line block ×10, first 2 shown]
.long 0xD0CC0038, 0x0001004A
.long 0xD100000C, 0x00E218F2
.long 0xD100000D, 0x00E21AF2
.long 0xD3B1400E, 0x18021D0C
.long 0xD3B2400E, 0x18021D0A
.long 0x261C1CFF, 0x7FFFFFFF
.long 0x261E1EFF, 0x7FFFFFFF
.long 0x7E1C150E
.long 0x7E1E150F
.long 0xD2A0000E, 0x00021F0E
.long 0xE070D000, 0x80140E07
.long 0xBF800000
.long 0xD0CC0038, 0x0001004A
.long 0xD100000C, 0x00E218F2
.long 0xD100000D, 0x00E21AF2
.long 0xD3B14014, 0x1802290C
.long 0xD3B24014, 0x1802290A
.long 0x262828FF, 0x7FFFFFFF
.long 0x262A2AFF, 0x7FFFFFFF
.long 0x7E281514
.long 0x7E2A1515
.long 0xD2A00014, 0x00022B14
.long 0xE070D000, 0x80141411
.long 0xBF800000
	;; [unrolled: 12-line block ×4, first 2 shown]
.long 0xBF800000
.long 0xBED41C00
.long 0x815684FF, 0x00014194
.long 0x80545654
.long 0x82558055
	;; [unrolled: 1-line block ×3, first 2 shown]
.long 0x7E4402FF, 0x80000000
.long 0xD0C90054, 0x00003900
	;; [unrolled: 1-line block ×3, first 2 shown]
.long 0x86D85854
.long 0x925402FF, 0x00000080
.long 0xD1350008, 0x0000A900
.long 0x24101082
.long 0xD1000008, 0x01621122
.long 0xBF8CC07F
.long 0xBF8A0000
.long 0xD8EC0000, 0x0A000008
.long 0x24120082
.long 0xE0541000, 0x80120C09
.long 0xD1FE0006, 0x020A0103
.long 0xD1000006, 0x01620D22
.long 0xD1FE0007, 0x02060103
.long 0xD1000007, 0x01620F22
.long 0xD1196A01, 0x00010301
.long 0xD1340002, 0x00005502
.long 0xD1340003, 0x00005103
.long 0xD0C90054, 0x00003900
.long 0xD0C90058, 0x00003B01
.long 0x86D85854
.long 0x925402FF, 0x00000080
.long 0xD1350012, 0x0000A900
.long 0x24242482
.long 0xD1000012, 0x01622522
.long 0x24260082
.long 0xD1FE0010, 0x020A0103
.long 0xD1000010, 0x01622122
.long 0xD1FE0011, 0x02060103
.long 0xD1000011, 0x01622322
.long 0xD1196A01, 0x00010301
.long 0xD1340002, 0x00005502
.long 0xD1340003, 0x00005103
.long 0xD0C90054, 0x00003900
.long 0xD0C90058, 0x00003B01
.long 0x86D85854
.long 0x925402FF, 0x00000080
.long 0xD1350018, 0x0000A900
.long 0x24303082
.long 0xD1000018, 0x01623122
.long 0x24320082
.long 0xD1FE0016, 0x020A0103
.long 0xD1000016, 0x01622D22
.long 0xD1FE0017, 0x02060103
.long 0xD1000017, 0x01622F22
.long 0xD1196A01, 0x00010301
.long 0xD1340002, 0x00005502
.long 0xD1340003, 0x00005103
.long 0xD0C90054, 0x00003900
.long 0xD0C90058, 0x00003B01
	;; [unrolled: 15-line block ×3, first 2 shown]
.long 0xD3D8401B, 0x18000106
.long 0xD3D84020, 0x18000103
	;; [unrolled: 1-line block ×3, first 2 shown]
.long 0xBF800001
.long 0xE074D000, 0x80030E06
.long 0xE074D000, 0x80031410
	;; [unrolled: 1-line block ×4, first 2 shown]
.long 0xBF800000
.long 0x92421415
	;; [unrolled: 1-line block ×16, first 2 shown]
.long 0xC2330CCC, 0x00000000
.long 0x965F811C
.long 0x925E811C
	;; [unrolled: 1-line block ×15, first 2 shown]
.long 0x7E4402FF, 0x80000000
.long 0xBEE00016
.long 0xBEE10017
.long 0xBEE2000E
.long 0xBEE3000F
.long 0xBF8CC07F
.long 0xBF068133
.long 0xBF840AA3
.long 0xE054D000, 0x80180E06
.long 0xBE850032
.long 0x81858105
	;; [unrolled: 1-line block ×6, first 2 shown]
.long 0xE054D000, 0x80188006
.long 0x81858105
.long 0x80605A60
.long 0x82615B61
.long 0xBF008005
.long 0xBF850276
.long 0xE054D000, 0x80188806
.long 0x81858105
.long 0x80605A60
.long 0x82615B61
.long 0xBF008005
.long 0xBF850268
	;; [unrolled: 6-line block ×14, first 2 shown]
.long 0xE054D000, 0x8018F006
.long 0xBF8C0F7E
.long 0xD3B2400E, 0x1803010E
.long 0x81858105
.long 0xBF05CE05
.long 0xBF850217
.long 0x80605A60
.long 0x82615B61
.long 0xD0C6005C, 0x00000A80
.long 0xD1000023, 0x01724506
.long 0xE054D000, 0x80188023
.long 0xBF8C0F7E
.long 0xD3B2400E, 0x1803110E
.long 0x81858105
.long 0xBF05CE05
.long 0xBF850209
.long 0x80605A60
.long 0x82615B61
.long 0xD0C6005C, 0x00000A80
.long 0xD1000023, 0x01724506
	;; [unrolled: 10-line block ×15, first 2 shown]
.long 0xE054D000, 0x8018F023
.long 0xBF02CE05
.long 0xBF85FF2C
	;; [unrolled: 1-line block ×3, first 2 shown]
.long 0xD3B2400E, 0x1803010E
.long 0xBF8C0F7C
.long 0xD3B2400E, 0x1803110E
.long 0xBF8C0F7B
	;; [unrolled: 2-line block ×14, first 2 shown]
.long 0xBF8C0F7C
.long 0xD3B2400E, 0x1803010E
.long 0xBF8C0F7B
.long 0xD3B2400E, 0x1803110E
	;; [unrolled: 2-line block ×13, first 2 shown]
.long 0xBF8200F6
.long 0xBF8C0F7B
.long 0xD3B2400E, 0x1803010E
.long 0xBF8C0F7A
.long 0xD3B2400E, 0x1803110E
	;; [unrolled: 2-line block ×12, first 2 shown]
.long 0xBF8200D1
.long 0xBF8C0F7A
.long 0xD3B2400E, 0x1803010E
.long 0xBF8C0F79
.long 0xD3B2400E, 0x1803110E
	;; [unrolled: 2-line block ×11, first 2 shown]
.long 0xBF8200AF
.long 0xBF8C0F79
.long 0xD3B2400E, 0x1803010E
.long 0xBF8C0F78
.long 0xD3B2400E, 0x1803110E
.long 0xBF8C0F77
.long 0xD3B2400E, 0x1803210E
.long 0xBF8C0F76
.long 0xD3B2400E, 0x1803310E
.long 0xBF8C0F75
.long 0xD3B2400E, 0x1803410E
.long 0xBF8C0F74
.long 0xD3B2400E, 0x1803510E
.long 0xBF8C0F73
.long 0xD3B2400E, 0x1803610E
.long 0xBF8C0F72
.long 0xD3B2400E, 0x1803710E
.long 0xBF8C0F71
.long 0xD3B2400E, 0x1803810E
.long 0xBF8C0F70
.long 0xD3B2400E, 0x1803910E
.long 0xBF820090
.long 0xBF8C0F78
.long 0xD3B2400E, 0x1803010E
.long 0xBF8C0F77
.long 0xD3B2400E, 0x1803110E
.long 0xBF8C0F76
.long 0xD3B2400E, 0x1803210E
.long 0xBF8C0F75
.long 0xD3B2400E, 0x1803310E
.long 0xBF8C0F74
.long 0xD3B2400E, 0x1803410E
.long 0xBF8C0F73
.long 0xD3B2400E, 0x1803510E
.long 0xBF8C0F72
.long 0xD3B2400E, 0x1803610E
.long 0xBF8C0F71
.long 0xD3B2400E, 0x1803710E
.long 0xBF8C0F70
.long 0xD3B2400E, 0x1803810E
.long 0xBF820074
.long 0xBF8C0F77
.long 0xD3B2400E, 0x1803010E
.long 0xBF8C0F76
.long 0xD3B2400E, 0x1803110E
	;; [unrolled: 2-line block ×8, first 2 shown]
.long 0xBF82005B
.long 0xBF8C0F76
.long 0xD3B2400E, 0x1803010E
.long 0xBF8C0F75
.long 0xD3B2400E, 0x1803110E
	;; [unrolled: 2-line block ×7, first 2 shown]
.long 0xBF820045
.long 0xBF8C0F75
.long 0xD3B2400E, 0x1803010E
.long 0xBF8C0F74
.long 0xD3B2400E, 0x1803110E
	;; [unrolled: 2-line block ×6, first 2 shown]
.long 0xBF820032
.long 0xBF8C0F74
.long 0xD3B2400E, 0x1803010E
.long 0xBF8C0F73
.long 0xD3B2400E, 0x1803110E
	;; [unrolled: 2-line block ×5, first 2 shown]
.long 0xBF820022
.long 0xBF8C0F73
.long 0xD3B2400E, 0x1803010E
.long 0xBF8C0F72
.long 0xD3B2400E, 0x1803110E
	;; [unrolled: 2-line block ×4, first 2 shown]
.long 0xBF820015
.long 0xBF8C0F72
.long 0xD3B2400E, 0x1803010E
.long 0xBF8C0F71
.long 0xD3B2400E, 0x1803110E
	;; [unrolled: 2-line block ×3, first 2 shown]
.long 0xBF82000B
.long 0xBF8C0F71
.long 0xD3B2400E, 0x1803010E
.long 0xBF8C0F70
.long 0xD3B2400E, 0x1803110E
.long 0xBF820004
.long 0xBF8C0F70
.long 0xD3B2400E, 0x1803010E
.long 0xBF820000
.long 0x7E4402FF, 0x80000000
.long 0xBEE00016
.long 0xBEE10017
	;; [unrolled: 1-line block ×4, first 2 shown]
.long 0xE054D000, 0x80181410
.long 0xBE850032
.long 0x81858105
	;; [unrolled: 1-line block ×6, first 2 shown]
.long 0xE054D000, 0x80188010
.long 0x81858105
.long 0x80605A60
.long 0x82615B61
.long 0xBF008005
.long 0xBF850276
.long 0xE054D000, 0x80188810
.long 0x81858105
.long 0x80605A60
.long 0x82615B61
.long 0xBF008005
.long 0xBF850268
	;; [unrolled: 6-line block ×14, first 2 shown]
.long 0xE054D000, 0x8018F010
.long 0xBF8C0F7E
.long 0xD3B24014, 0x18030114
.long 0x81858105
.long 0xBF05CE05
.long 0xBF850217
.long 0x80605A60
.long 0x82615B61
.long 0xD0C6005C, 0x00000A80
.long 0xD1000023, 0x01724510
.long 0xE054D000, 0x80188023
.long 0xBF8C0F7E
.long 0xD3B24014, 0x18031114
.long 0x81858105
.long 0xBF05CE05
.long 0xBF850209
.long 0x80605A60
.long 0x82615B61
.long 0xD0C6005C, 0x00000A80
.long 0xD1000023, 0x01724510
	;; [unrolled: 10-line block ×15, first 2 shown]
.long 0xE054D000, 0x8018F023
.long 0xBF02CE05
.long 0xBF85FF2C
	;; [unrolled: 1-line block ×3, first 2 shown]
.long 0xD3B24014, 0x18030114
.long 0xBF8C0F7C
.long 0xD3B24014, 0x18031114
.long 0xBF8C0F7B
	;; [unrolled: 2-line block ×14, first 2 shown]
.long 0xBF8C0F7C
.long 0xD3B24014, 0x18030114
.long 0xBF8C0F7B
.long 0xD3B24014, 0x18031114
	;; [unrolled: 2-line block ×13, first 2 shown]
.long 0xBF8200F6
.long 0xBF8C0F7B
.long 0xD3B24014, 0x18030114
.long 0xBF8C0F7A
.long 0xD3B24014, 0x18031114
	;; [unrolled: 2-line block ×12, first 2 shown]
.long 0xBF8200D1
.long 0xBF8C0F7A
.long 0xD3B24014, 0x18030114
.long 0xBF8C0F79
.long 0xD3B24014, 0x18031114
.long 0xBF8C0F78
.long 0xD3B24014, 0x18032114
.long 0xBF8C0F77
.long 0xD3B24014, 0x18033114
.long 0xBF8C0F76
.long 0xD3B24014, 0x18034114
.long 0xBF8C0F75
.long 0xD3B24014, 0x18035114
.long 0xBF8C0F74
.long 0xD3B24014, 0x18036114
.long 0xBF8C0F73
.long 0xD3B24014, 0x18037114
.long 0xBF8C0F72
.long 0xD3B24014, 0x18038114
.long 0xBF8C0F71
.long 0xD3B24014, 0x18039114
.long 0xBF8C0F70
.long 0xD3B24014, 0x1803A114
.long 0xBF8200AF
.long 0xBF8C0F79
.long 0xD3B24014, 0x18030114
.long 0xBF8C0F78
.long 0xD3B24014, 0x18031114
	;; [unrolled: 2-line block ×10, first 2 shown]
.long 0xBF820090
.long 0xBF8C0F78
.long 0xD3B24014, 0x18030114
.long 0xBF8C0F77
.long 0xD3B24014, 0x18031114
	;; [unrolled: 2-line block ×9, first 2 shown]
.long 0xBF820074
.long 0xBF8C0F77
.long 0xD3B24014, 0x18030114
.long 0xBF8C0F76
.long 0xD3B24014, 0x18031114
	;; [unrolled: 2-line block ×8, first 2 shown]
.long 0xBF82005B
.long 0xBF8C0F76
.long 0xD3B24014, 0x18030114
.long 0xBF8C0F75
.long 0xD3B24014, 0x18031114
	;; [unrolled: 2-line block ×7, first 2 shown]
.long 0xBF820045
.long 0xBF8C0F75
.long 0xD3B24014, 0x18030114
.long 0xBF8C0F74
.long 0xD3B24014, 0x18031114
.long 0xBF8C0F73
.long 0xD3B24014, 0x18032114
.long 0xBF8C0F72
.long 0xD3B24014, 0x18033114
.long 0xBF8C0F71
.long 0xD3B24014, 0x18034114
.long 0xBF8C0F70
.long 0xD3B24014, 0x18035114
.long 0xBF820032
.long 0xBF8C0F74
.long 0xD3B24014, 0x18030114
.long 0xBF8C0F73
.long 0xD3B24014, 0x18031114
	;; [unrolled: 2-line block ×5, first 2 shown]
.long 0xBF820022
.long 0xBF8C0F73
.long 0xD3B24014, 0x18030114
.long 0xBF8C0F72
.long 0xD3B24014, 0x18031114
	;; [unrolled: 2-line block ×4, first 2 shown]
.long 0xBF820015
.long 0xBF8C0F72
.long 0xD3B24014, 0x18030114
.long 0xBF8C0F71
.long 0xD3B24014, 0x18031114
	;; [unrolled: 2-line block ×3, first 2 shown]
.long 0xBF82000B
.long 0xBF8C0F71
.long 0xD3B24014, 0x18030114
.long 0xBF8C0F70
.long 0xD3B24014, 0x18031114
.long 0xBF820004
.long 0xBF8C0F70
.long 0xD3B24014, 0x18030114
.long 0xBF820000
.long 0x7E4402FF, 0x80000000
.long 0xBEE00016
.long 0xBEE10017
	;; [unrolled: 1-line block ×4, first 2 shown]
.long 0xE054D000, 0x80181A16
.long 0xBE850032
.long 0x81858105
	;; [unrolled: 1-line block ×6, first 2 shown]
.long 0xE054D000, 0x80188016
.long 0x81858105
.long 0x80605A60
.long 0x82615B61
.long 0xBF008005
.long 0xBF850276
.long 0xE054D000, 0x80188816
.long 0x81858105
.long 0x80605A60
.long 0x82615B61
.long 0xBF008005
.long 0xBF850268
	;; [unrolled: 6-line block ×14, first 2 shown]
.long 0xE054D000, 0x8018F016
.long 0xBF8C0F7E
.long 0xD3B2401A, 0x1803011A
.long 0x81858105
.long 0xBF05CE05
.long 0xBF850217
.long 0x80605A60
.long 0x82615B61
.long 0xD0C6005C, 0x00000A80
.long 0xD1000023, 0x01724516
.long 0xE054D000, 0x80188023
.long 0xBF8C0F7E
.long 0xD3B2401A, 0x1803111A
.long 0x81858105
.long 0xBF05CE05
.long 0xBF850209
.long 0x80605A60
.long 0x82615B61
.long 0xD0C6005C, 0x00000A80
.long 0xD1000023, 0x01724516
	;; [unrolled: 10-line block ×15, first 2 shown]
.long 0xE054D000, 0x8018F023
.long 0xBF02CE05
.long 0xBF85FF2C
	;; [unrolled: 1-line block ×3, first 2 shown]
.long 0xD3B2401A, 0x1803011A
.long 0xBF8C0F7C
.long 0xD3B2401A, 0x1803111A
.long 0xBF8C0F7B
	;; [unrolled: 2-line block ×14, first 2 shown]
.long 0xBF8C0F7C
.long 0xD3B2401A, 0x1803011A
.long 0xBF8C0F7B
.long 0xD3B2401A, 0x1803111A
	;; [unrolled: 2-line block ×13, first 2 shown]
.long 0xBF8200F6
.long 0xBF8C0F7B
.long 0xD3B2401A, 0x1803011A
.long 0xBF8C0F7A
.long 0xD3B2401A, 0x1803111A
	;; [unrolled: 2-line block ×12, first 2 shown]
.long 0xBF8200D1
.long 0xBF8C0F7A
.long 0xD3B2401A, 0x1803011A
.long 0xBF8C0F79
.long 0xD3B2401A, 0x1803111A
	;; [unrolled: 2-line block ×11, first 2 shown]
.long 0xBF8200AF
.long 0xBF8C0F79
.long 0xD3B2401A, 0x1803011A
.long 0xBF8C0F78
.long 0xD3B2401A, 0x1803111A
	;; [unrolled: 2-line block ×10, first 2 shown]
.long 0xBF820090
.long 0xBF8C0F78
.long 0xD3B2401A, 0x1803011A
.long 0xBF8C0F77
.long 0xD3B2401A, 0x1803111A
.long 0xBF8C0F76
.long 0xD3B2401A, 0x1803211A
.long 0xBF8C0F75
.long 0xD3B2401A, 0x1803311A
.long 0xBF8C0F74
.long 0xD3B2401A, 0x1803411A
.long 0xBF8C0F73
.long 0xD3B2401A, 0x1803511A
.long 0xBF8C0F72
.long 0xD3B2401A, 0x1803611A
.long 0xBF8C0F71
.long 0xD3B2401A, 0x1803711A
.long 0xBF8C0F70
.long 0xD3B2401A, 0x1803811A
.long 0xBF820074
.long 0xBF8C0F77
.long 0xD3B2401A, 0x1803011A
.long 0xBF8C0F76
.long 0xD3B2401A, 0x1803111A
	;; [unrolled: 2-line block ×8, first 2 shown]
.long 0xBF82005B
.long 0xBF8C0F76
.long 0xD3B2401A, 0x1803011A
.long 0xBF8C0F75
.long 0xD3B2401A, 0x1803111A
	;; [unrolled: 2-line block ×7, first 2 shown]
.long 0xBF820045
.long 0xBF8C0F75
.long 0xD3B2401A, 0x1803011A
.long 0xBF8C0F74
.long 0xD3B2401A, 0x1803111A
	;; [unrolled: 2-line block ×6, first 2 shown]
.long 0xBF820032
.long 0xBF8C0F74
.long 0xD3B2401A, 0x1803011A
.long 0xBF8C0F73
.long 0xD3B2401A, 0x1803111A
	;; [unrolled: 2-line block ×5, first 2 shown]
.long 0xBF820022
.long 0xBF8C0F73
.long 0xD3B2401A, 0x1803011A
.long 0xBF8C0F72
.long 0xD3B2401A, 0x1803111A
	;; [unrolled: 2-line block ×4, first 2 shown]
.long 0xBF820015
.long 0xBF8C0F72
.long 0xD3B2401A, 0x1803011A
.long 0xBF8C0F71
.long 0xD3B2401A, 0x1803111A
	;; [unrolled: 2-line block ×3, first 2 shown]
.long 0xBF82000B
.long 0xBF8C0F71
.long 0xD3B2401A, 0x1803011A
.long 0xBF8C0F70
.long 0xD3B2401A, 0x1803111A
.long 0xBF820004
.long 0xBF8C0F70
.long 0xD3B2401A, 0x1803011A
.long 0xBF820000
.long 0x7E4402FF, 0x80000000
.long 0xBEE00016
.long 0xBEE10017
	;; [unrolled: 1-line block ×4, first 2 shown]
.long 0xE054D000, 0x8018201C
.long 0xBE850032
.long 0x81858105
	;; [unrolled: 1-line block ×6, first 2 shown]
.long 0xE054D000, 0x8018801C
.long 0x81858105
.long 0x80605A60
.long 0x82615B61
.long 0xBF008005
.long 0xBF850276
.long 0xE054D000, 0x8018881C
.long 0x81858105
.long 0x80605A60
.long 0x82615B61
.long 0xBF008005
.long 0xBF850268
	;; [unrolled: 6-line block ×14, first 2 shown]
.long 0xE054D000, 0x8018F01C
.long 0xBF8C0F7E
.long 0xD3B24020, 0x18030120
.long 0x81858105
.long 0xBF05CE05
.long 0xBF850217
.long 0x80605A60
.long 0x82615B61
.long 0xD0C6005C, 0x00000A80
.long 0xD1000023, 0x0172451C
.long 0xE054D000, 0x80188023
.long 0xBF8C0F7E
.long 0xD3B24020, 0x18031120
.long 0x81858105
.long 0xBF05CE05
.long 0xBF850209
.long 0x80605A60
.long 0x82615B61
.long 0xD0C6005C, 0x00000A80
.long 0xD1000023, 0x0172451C
	;; [unrolled: 10-line block ×15, first 2 shown]
.long 0xE054D000, 0x8018F023
.long 0xBF02CE05
.long 0xBF85FF2C
	;; [unrolled: 1-line block ×3, first 2 shown]
.long 0xD3B24020, 0x18030120
.long 0xBF8C0F7C
.long 0xD3B24020, 0x18031120
.long 0xBF8C0F7B
	;; [unrolled: 2-line block ×14, first 2 shown]
.long 0xBF8C0F7C
.long 0xD3B24020, 0x18030120
.long 0xBF8C0F7B
.long 0xD3B24020, 0x18031120
	;; [unrolled: 2-line block ×13, first 2 shown]
.long 0xBF8200F6
.long 0xBF8C0F7B
.long 0xD3B24020, 0x18030120
.long 0xBF8C0F7A
.long 0xD3B24020, 0x18031120
	;; [unrolled: 2-line block ×12, first 2 shown]
.long 0xBF8200D1
.long 0xBF8C0F7A
.long 0xD3B24020, 0x18030120
.long 0xBF8C0F79
.long 0xD3B24020, 0x18031120
.long 0xBF8C0F78
.long 0xD3B24020, 0x18032120
.long 0xBF8C0F77
.long 0xD3B24020, 0x18033120
.long 0xBF8C0F76
.long 0xD3B24020, 0x18034120
.long 0xBF8C0F75
.long 0xD3B24020, 0x18035120
.long 0xBF8C0F74
.long 0xD3B24020, 0x18036120
.long 0xBF8C0F73
.long 0xD3B24020, 0x18037120
.long 0xBF8C0F72
.long 0xD3B24020, 0x18038120
.long 0xBF8C0F71
.long 0xD3B24020, 0x18039120
.long 0xBF8C0F70
.long 0xD3B24020, 0x1803A120
.long 0xBF8200AF
.long 0xBF8C0F79
.long 0xD3B24020, 0x18030120
.long 0xBF8C0F78
.long 0xD3B24020, 0x18031120
.long 0xBF8C0F77
.long 0xD3B24020, 0x18032120
.long 0xBF8C0F76
.long 0xD3B24020, 0x18033120
.long 0xBF8C0F75
.long 0xD3B24020, 0x18034120
.long 0xBF8C0F74
.long 0xD3B24020, 0x18035120
.long 0xBF8C0F73
.long 0xD3B24020, 0x18036120
.long 0xBF8C0F72
.long 0xD3B24020, 0x18037120
.long 0xBF8C0F71
.long 0xD3B24020, 0x18038120
.long 0xBF8C0F70
.long 0xD3B24020, 0x18039120
.long 0xBF820090
.long 0xBF8C0F78
.long 0xD3B24020, 0x18030120
.long 0xBF8C0F77
.long 0xD3B24020, 0x18031120
.long 0xBF8C0F76
.long 0xD3B24020, 0x18032120
.long 0xBF8C0F75
.long 0xD3B24020, 0x18033120
.long 0xBF8C0F74
.long 0xD3B24020, 0x18034120
.long 0xBF8C0F73
.long 0xD3B24020, 0x18035120
.long 0xBF8C0F72
.long 0xD3B24020, 0x18036120
.long 0xBF8C0F71
.long 0xD3B24020, 0x18037120
.long 0xBF8C0F70
.long 0xD3B24020, 0x18038120
.long 0xBF820074
.long 0xBF8C0F77
.long 0xD3B24020, 0x18030120
.long 0xBF8C0F76
.long 0xD3B24020, 0x18031120
	;; [unrolled: 2-line block ×8, first 2 shown]
.long 0xBF82005B
.long 0xBF8C0F76
.long 0xD3B24020, 0x18030120
.long 0xBF8C0F75
.long 0xD3B24020, 0x18031120
	;; [unrolled: 2-line block ×7, first 2 shown]
.long 0xBF820045
.long 0xBF8C0F75
.long 0xD3B24020, 0x18030120
.long 0xBF8C0F74
.long 0xD3B24020, 0x18031120
	;; [unrolled: 2-line block ×6, first 2 shown]
.long 0xBF820032
.long 0xBF8C0F74
.long 0xD3B24020, 0x18030120
.long 0xBF8C0F73
.long 0xD3B24020, 0x18031120
	;; [unrolled: 2-line block ×5, first 2 shown]
.long 0xBF820022
.long 0xBF8C0F73
.long 0xD3B24020, 0x18030120
.long 0xBF8C0F72
.long 0xD3B24020, 0x18031120
	;; [unrolled: 2-line block ×4, first 2 shown]
.long 0xBF820015
.long 0xBF8C0F72
.long 0xD3B24020, 0x18030120
.long 0xBF8C0F71
.long 0xD3B24020, 0x18031120
	;; [unrolled: 2-line block ×3, first 2 shown]
.long 0xBF82000B
.long 0xBF8C0F71
.long 0xD3B24020, 0x18030120
.long 0xBF8C0F70
.long 0xD3B24020, 0x18031120
.long 0xBF820004
.long 0xBF8C0F70
.long 0xD3B24020, 0x18030120
.long 0xBF820000
.long 0x0A1C1C30
	;; [unrolled: 1-line block ×10, first 2 shown]
.long 0xD0CC0038, 0x0001004A
.long 0xD100000C, 0x00E218F2
.long 0xD100000D, 0x00E21AF2
.long 0xD3B1400E, 0x18021D0C
.long 0xD3B2400E, 0x18021D0A
.long 0xD044006A, 0x00007D0E
.long 0x141C1C3F
.long 0x001C1C80
.long 0xD044006A, 0x00007D0F
.long 0x141E1E3F
.long 0x001E1E80
.long 0x7E1C150E
.long 0x7E1E150F
.long 0xD2A0000E, 0x00021F0E
.long 0xE070D000, 0x80140E07
.long 0xBF800000
.long 0xD0CC0038, 0x0001004A
.long 0xD100000C, 0x00E218F2
.long 0xD100000D, 0x00E21AF2
.long 0xD3B14014, 0x1802290C
.long 0xD3B24014, 0x1802290A
.long 0xD044006A, 0x00007D14
.long 0x1428283F
.long 0x00282880
.long 0xD044006A, 0x00007D15
.long 0x142A2A3F
.long 0x002A2A80
.long 0x7E281514
.long 0x7E2A1515
.long 0xD2A00014, 0x00022B14
.long 0xE070D000, 0x80141411
.long 0xBF800000
	;; [unrolled: 16-line block ×4, first 2 shown]
.long 0xBF800000
.long 0xBF82450B
.long 0x7E4402FF, 0x80000000
.long 0xD0C90054, 0x00003900
	;; [unrolled: 1-line block ×3, first 2 shown]
.long 0x86D85854
.long 0x925402FF, 0x00000080
.long 0xD1350008, 0x0000A900
.long 0x24101082
.long 0xD1000008, 0x01621122
.long 0xBF8CC07F
.long 0xBF8A0000
.long 0xD8EC0000, 0x0A000008
.long 0x24120082
.long 0xE0541000, 0x80120C09
.long 0xD1FE0006, 0x020A0103
.long 0xD1000006, 0x01620D22
.long 0xD1FE0007, 0x02060103
.long 0xD1000007, 0x01620F22
.long 0xD1196A01, 0x00010301
.long 0xD1340002, 0x00005502
.long 0xD1340003, 0x00005103
.long 0xD0C90054, 0x00003900
.long 0xD0C90058, 0x00003B01
.long 0x86D85854
.long 0x925402FF, 0x00000080
.long 0xD1350012, 0x0000A900
.long 0x24242482
.long 0xD1000012, 0x01622522
.long 0x24260082
.long 0xD1FE0010, 0x020A0103
.long 0xD1000010, 0x01622122
.long 0xD1FE0011, 0x02060103
.long 0xD1000011, 0x01622322
.long 0xD1196A01, 0x00010301
.long 0xD1340002, 0x00005502
.long 0xD1340003, 0x00005103
.long 0xD0C90054, 0x00003900
.long 0xD0C90058, 0x00003B01
.long 0x86D85854
.long 0x925402FF, 0x00000080
.long 0xD1350018, 0x0000A900
.long 0x24303082
.long 0xD1000018, 0x01623122
.long 0x24320082
.long 0xD1FE0016, 0x020A0103
.long 0xD1000016, 0x01622D22
.long 0xD1FE0017, 0x02060103
.long 0xD1000017, 0x01622F22
.long 0xD1196A01, 0x00010301
.long 0xD1340002, 0x00005502
.long 0xD1340003, 0x00005103
.long 0xD0C90054, 0x00003900
.long 0xD0C90058, 0x00003B01
	;; [unrolled: 15-line block ×3, first 2 shown]
.long 0xD3D8401B, 0x18000106
.long 0xD3D84020, 0x18000103
	;; [unrolled: 1-line block ×3, first 2 shown]
.long 0xBF800001
.long 0xE074D000, 0x80030E06
.long 0xE074D000, 0x80031410
	;; [unrolled: 1-line block ×4, first 2 shown]
.long 0xBF800000
.long 0x92421415
	;; [unrolled: 1-line block ×16, first 2 shown]
.long 0xC2330CCC, 0x00000000
.long 0x965F811C
.long 0x925E811C
	;; [unrolled: 1-line block ×15, first 2 shown]
.long 0x7E4402FF, 0x80000000
.long 0xBEE00016
.long 0xBEE10017
	;; [unrolled: 1-line block ×7, first 2 shown]
.long 0xE054D000, 0x80180E06
.long 0xBE850032
.long 0x81858105
.long 0x80605A60
.long 0x82615B61
.long 0xBF008005
.long 0xBF850281
.long 0xE054D000, 0x80188006
.long 0x81858105
.long 0x80605A60
.long 0x82615B61
.long 0xBF008005
.long 0xBF850276
.long 0xE054D000, 0x80188806
.long 0x81858105
.long 0x80605A60
.long 0x82615B61
.long 0xBF008005
.long 0xBF850268
.long 0xE054D000, 0x80189006
.long 0x81858105
.long 0x80605A60
.long 0x82615B61
.long 0xBF008005
.long 0xBF850257
.long 0xE054D000, 0x80189806
.long 0x81858105
.long 0x80605A60
.long 0x82615B61
.long 0xBF008005
.long 0xBF850243
.long 0xE054D000, 0x8018A006
.long 0x81858105
.long 0x80605A60
.long 0x82615B61
.long 0xBF008005
.long 0xBF85022C
.long 0xE054D000, 0x8018A806
.long 0x81858105
.long 0x80605A60
.long 0x82615B61
.long 0xBF008005
.long 0xBF850212
.long 0xE054D000, 0x8018B006
.long 0x81858105
.long 0x80605A60
.long 0x82615B61
.long 0xBF008005
.long 0xBF8501F5
.long 0xE054D000, 0x8018B806
.long 0x81858105
.long 0x80605A60
.long 0x82615B61
.long 0xBF008005
.long 0xBF8501D5
.long 0xE054D000, 0x8018C006
.long 0x81858105
.long 0x80605A60
.long 0x82615B61
.long 0xBF008005
.long 0xBF8501B2
.long 0xE054D000, 0x8018C806
.long 0x81858105
.long 0x80605A60
.long 0x82615B61
.long 0xBF008005
.long 0xBF85018C
.long 0xE054D000, 0x8018D006
.long 0x81858105
.long 0x80605A60
.long 0x82615B61
.long 0xBF008005
.long 0xBF850163
.long 0xE054D000, 0x8018D806
.long 0x81858105
.long 0x80605A60
.long 0x82615B61
.long 0xBF008005
.long 0xBF850137
.long 0xE054D000, 0x8018E006
.long 0x81858105
.long 0x80605A60
.long 0x82615B61
.long 0xBF008005
.long 0xBF850108
.long 0xE054D000, 0x8018E806
.long 0x81858105
.long 0x80605A60
.long 0x82615B61
.long 0xBF008005
.long 0xBF8500D6
.long 0xE054D000, 0x8018F006
.long 0xBF8C0F7E
.long 0xD3B2400E, 0x1803010E
.long 0x81858105
.long 0xBF05CE05
.long 0xBF850217
.long 0x80605A60
.long 0x82615B61
.long 0xD0C6005C, 0x00000A80
.long 0xD1000023, 0x01724506
.long 0xE054D000, 0x80188023
.long 0xBF8C0F7E
.long 0xD3B2400E, 0x1803110E
.long 0x81858105
.long 0xBF05CE05
.long 0xBF850209
.long 0x80605A60
.long 0x82615B61
.long 0xD0C6005C, 0x00000A80
.long 0xD1000023, 0x01724506
.long 0xE054D000, 0x80188823
.long 0xBF8C0F7E
.long 0xD3B2400E, 0x1803210E
.long 0x81858105
.long 0xBF05CE05
.long 0xBF8501FB
.long 0x80605A60
.long 0x82615B61
.long 0xD0C6005C, 0x00000A80
.long 0xD1000023, 0x01724506
.long 0xE054D000, 0x80189023
.long 0xBF8C0F7E
.long 0xD3B2400E, 0x1803310E
.long 0x81858105
.long 0xBF05CE05
.long 0xBF8501ED
.long 0x80605A60
.long 0x82615B61
.long 0xD0C6005C, 0x00000A80
.long 0xD1000023, 0x01724506
.long 0xE054D000, 0x80189823
.long 0xBF8C0F7E
.long 0xD3B2400E, 0x1803410E
.long 0x81858105
.long 0xBF05CE05
.long 0xBF8501DF
.long 0x80605A60
.long 0x82615B61
.long 0xD0C6005C, 0x00000A80
.long 0xD1000023, 0x01724506
.long 0xE054D000, 0x8018A023
.long 0xBF8C0F7E
.long 0xD3B2400E, 0x1803510E
.long 0x81858105
.long 0xBF05CE05
.long 0xBF8501D1
.long 0x80605A60
.long 0x82615B61
.long 0xD0C6005C, 0x00000A80
.long 0xD1000023, 0x01724506
.long 0xE054D000, 0x8018A823
.long 0xBF8C0F7E
.long 0xD3B2400E, 0x1803610E
.long 0x81858105
.long 0xBF05CE05
.long 0xBF8501C3
.long 0x80605A60
.long 0x82615B61
.long 0xD0C6005C, 0x00000A80
.long 0xD1000023, 0x01724506
.long 0xE054D000, 0x8018B023
.long 0xBF8C0F7E
.long 0xD3B2400E, 0x1803710E
.long 0x81858105
.long 0xBF05CE05
.long 0xBF8501B5
.long 0x80605A60
.long 0x82615B61
.long 0xD0C6005C, 0x00000A80
.long 0xD1000023, 0x01724506
.long 0xE054D000, 0x8018B823
.long 0xBF8C0F7E
.long 0xD3B2400E, 0x1803810E
.long 0x81858105
.long 0xBF05CE05
.long 0xBF8501A7
.long 0x80605A60
.long 0x82615B61
.long 0xD0C6005C, 0x00000A80
.long 0xD1000023, 0x01724506
.long 0xE054D000, 0x8018C023
.long 0xBF8C0F7E
.long 0xD3B2400E, 0x1803910E
.long 0x81858105
.long 0xBF05CE05
.long 0xBF850199
.long 0x80605A60
.long 0x82615B61
.long 0xD0C6005C, 0x00000A80
.long 0xD1000023, 0x01724506
.long 0xE054D000, 0x8018C823
.long 0xBF8C0F7E
.long 0xD3B2400E, 0x1803A10E
.long 0x81858105
.long 0xBF05CE05
.long 0xBF85018B
.long 0x80605A60
.long 0x82615B61
.long 0xD0C6005C, 0x00000A80
.long 0xD1000023, 0x01724506
.long 0xE054D000, 0x8018D023
.long 0xBF8C0F7E
.long 0xD3B2400E, 0x1803B10E
.long 0x81858105
.long 0xBF05CE05
.long 0xBF85017D
.long 0x80605A60
.long 0x82615B61
.long 0xD0C6005C, 0x00000A80
.long 0xD1000023, 0x01724506
.long 0xE054D000, 0x8018D823
.long 0xBF8C0F7E
.long 0xD3B2400E, 0x1803C10E
.long 0x81858105
.long 0xBF05CE05
.long 0xBF85016F
.long 0x80605A60
.long 0x82615B61
.long 0xD0C6005C, 0x00000A80
.long 0xD1000023, 0x01724506
.long 0xE054D000, 0x8018E023
.long 0xBF8C0F7E
.long 0xD3B2400E, 0x1803D10E
.long 0x81858105
.long 0xBF05CE05
.long 0xBF850161
.long 0x80605A60
.long 0x82615B61
.long 0xD0C6005C, 0x00000A80
.long 0xD1000023, 0x01724506
.long 0xE054D000, 0x8018E823
.long 0xBF8C0F7E
.long 0xD3B2400E, 0x1803E10E
.long 0x81858105
.long 0xBF05CE05
.long 0xBF850153
.long 0x80605A60
.long 0x82615B61
.long 0xD0C6005C, 0x00000A80
.long 0xD1000023, 0x01724506
.long 0xE054D000, 0x8018F023
.long 0xBF02CE05
.long 0xBF85FF2C
	;; [unrolled: 1-line block ×3, first 2 shown]
.long 0xD3B2400E, 0x1803010E
.long 0xBF8C0F7C
.long 0xD3B2400E, 0x1803110E
.long 0xBF8C0F7B
	;; [unrolled: 2-line block ×14, first 2 shown]
.long 0xBF8C0F7C
.long 0xD3B2400E, 0x1803010E
.long 0xBF8C0F7B
.long 0xD3B2400E, 0x1803110E
	;; [unrolled: 2-line block ×13, first 2 shown]
.long 0xBF8200F6
.long 0xBF8C0F7B
.long 0xD3B2400E, 0x1803010E
.long 0xBF8C0F7A
.long 0xD3B2400E, 0x1803110E
	;; [unrolled: 2-line block ×12, first 2 shown]
.long 0xBF8200D1
.long 0xBF8C0F7A
.long 0xD3B2400E, 0x1803010E
.long 0xBF8C0F79
.long 0xD3B2400E, 0x1803110E
	;; [unrolled: 2-line block ×11, first 2 shown]
.long 0xBF8200AF
.long 0xBF8C0F79
.long 0xD3B2400E, 0x1803010E
.long 0xBF8C0F78
.long 0xD3B2400E, 0x1803110E
	;; [unrolled: 2-line block ×10, first 2 shown]
.long 0xBF820090
.long 0xBF8C0F78
.long 0xD3B2400E, 0x1803010E
.long 0xBF8C0F77
.long 0xD3B2400E, 0x1803110E
	;; [unrolled: 2-line block ×9, first 2 shown]
.long 0xBF820074
.long 0xBF8C0F77
.long 0xD3B2400E, 0x1803010E
.long 0xBF8C0F76
.long 0xD3B2400E, 0x1803110E
	;; [unrolled: 2-line block ×8, first 2 shown]
.long 0xBF82005B
.long 0xBF8C0F76
.long 0xD3B2400E, 0x1803010E
.long 0xBF8C0F75
.long 0xD3B2400E, 0x1803110E
	;; [unrolled: 2-line block ×7, first 2 shown]
.long 0xBF820045
.long 0xBF8C0F75
.long 0xD3B2400E, 0x1803010E
.long 0xBF8C0F74
.long 0xD3B2400E, 0x1803110E
	;; [unrolled: 2-line block ×6, first 2 shown]
.long 0xBF820032
.long 0xBF8C0F74
.long 0xD3B2400E, 0x1803010E
.long 0xBF8C0F73
.long 0xD3B2400E, 0x1803110E
	;; [unrolled: 2-line block ×5, first 2 shown]
.long 0xBF820022
.long 0xBF8C0F73
.long 0xD3B2400E, 0x1803010E
.long 0xBF8C0F72
.long 0xD3B2400E, 0x1803110E
	;; [unrolled: 2-line block ×4, first 2 shown]
.long 0xBF820015
.long 0xBF8C0F72
.long 0xD3B2400E, 0x1803010E
.long 0xBF8C0F71
.long 0xD3B2400E, 0x1803110E
	;; [unrolled: 2-line block ×3, first 2 shown]
.long 0xBF82000B
.long 0xBF8C0F71
.long 0xD3B2400E, 0x1803010E
.long 0xBF8C0F70
.long 0xD3B2400E, 0x1803110E
.long 0xBF820004
.long 0xBF8C0F70
.long 0xD3B2400E, 0x1803010E
.long 0xBF820000
.long 0x7E4402FF, 0x80000000
.long 0xBEE00016
.long 0xBEE10017
	;; [unrolled: 1-line block ×4, first 2 shown]
.long 0xE054D000, 0x80181410
.long 0xBE850032
.long 0x81858105
	;; [unrolled: 1-line block ×6, first 2 shown]
.long 0xE054D000, 0x80188010
.long 0x81858105
.long 0x80605A60
.long 0x82615B61
.long 0xBF008005
.long 0xBF850276
.long 0xE054D000, 0x80188810
.long 0x81858105
.long 0x80605A60
.long 0x82615B61
.long 0xBF008005
.long 0xBF850268
.long 0xE054D000, 0x80189010
.long 0x81858105
.long 0x80605A60
.long 0x82615B61
.long 0xBF008005
.long 0xBF850257
.long 0xE054D000, 0x80189810
.long 0x81858105
.long 0x80605A60
.long 0x82615B61
.long 0xBF008005
.long 0xBF850243
.long 0xE054D000, 0x8018A010
.long 0x81858105
.long 0x80605A60
.long 0x82615B61
.long 0xBF008005
.long 0xBF85022C
.long 0xE054D000, 0x8018A810
.long 0x81858105
.long 0x80605A60
.long 0x82615B61
.long 0xBF008005
.long 0xBF850212
.long 0xE054D000, 0x8018B010
.long 0x81858105
.long 0x80605A60
.long 0x82615B61
.long 0xBF008005
.long 0xBF8501F5
.long 0xE054D000, 0x8018B810
.long 0x81858105
.long 0x80605A60
.long 0x82615B61
.long 0xBF008005
.long 0xBF8501D5
.long 0xE054D000, 0x8018C010
.long 0x81858105
.long 0x80605A60
.long 0x82615B61
.long 0xBF008005
.long 0xBF8501B2
.long 0xE054D000, 0x8018C810
.long 0x81858105
.long 0x80605A60
.long 0x82615B61
.long 0xBF008005
.long 0xBF85018C
.long 0xE054D000, 0x8018D010
.long 0x81858105
.long 0x80605A60
.long 0x82615B61
.long 0xBF008005
.long 0xBF850163
.long 0xE054D000, 0x8018D810
.long 0x81858105
.long 0x80605A60
.long 0x82615B61
.long 0xBF008005
.long 0xBF850137
.long 0xE054D000, 0x8018E010
.long 0x81858105
.long 0x80605A60
.long 0x82615B61
.long 0xBF008005
.long 0xBF850108
.long 0xE054D000, 0x8018E810
.long 0x81858105
.long 0x80605A60
.long 0x82615B61
.long 0xBF008005
.long 0xBF8500D6
.long 0xE054D000, 0x8018F010
.long 0xBF8C0F7E
.long 0xD3B24014, 0x18030114
.long 0x81858105
.long 0xBF05CE05
.long 0xBF850217
.long 0x80605A60
.long 0x82615B61
.long 0xD0C6005C, 0x00000A80
.long 0xD1000023, 0x01724510
.long 0xE054D000, 0x80188023
.long 0xBF8C0F7E
.long 0xD3B24014, 0x18031114
.long 0x81858105
.long 0xBF05CE05
.long 0xBF850209
.long 0x80605A60
.long 0x82615B61
.long 0xD0C6005C, 0x00000A80
.long 0xD1000023, 0x01724510
	;; [unrolled: 10-line block ×15, first 2 shown]
.long 0xE054D000, 0x8018F023
.long 0xBF02CE05
.long 0xBF85FF2C
	;; [unrolled: 1-line block ×3, first 2 shown]
.long 0xD3B24014, 0x18030114
.long 0xBF8C0F7C
.long 0xD3B24014, 0x18031114
.long 0xBF8C0F7B
.long 0xD3B24014, 0x18032114
.long 0xBF8C0F7A
.long 0xD3B24014, 0x18033114
.long 0xBF8C0F79
.long 0xD3B24014, 0x18034114
.long 0xBF8C0F78
.long 0xD3B24014, 0x18035114
.long 0xBF8C0F77
.long 0xD3B24014, 0x18036114
.long 0xBF8C0F76
.long 0xD3B24014, 0x18037114
.long 0xBF8C0F75
.long 0xD3B24014, 0x18038114
.long 0xBF8C0F74
.long 0xD3B24014, 0x18039114
.long 0xBF8C0F73
.long 0xD3B24014, 0x1803A114
.long 0xBF8C0F72
.long 0xD3B24014, 0x1803B114
.long 0xBF8C0F71
.long 0xD3B24014, 0x1803C114
.long 0xBF8C0F70
.long 0xD3B24014, 0x1803D114
.long 0xBF82011E
.long 0xBF8C0F7C
.long 0xD3B24014, 0x18030114
.long 0xBF8C0F7B
.long 0xD3B24014, 0x18031114
	;; [unrolled: 2-line block ×13, first 2 shown]
.long 0xBF8200F6
.long 0xBF8C0F7B
.long 0xD3B24014, 0x18030114
.long 0xBF8C0F7A
.long 0xD3B24014, 0x18031114
	;; [unrolled: 2-line block ×12, first 2 shown]
.long 0xBF8200D1
.long 0xBF8C0F7A
.long 0xD3B24014, 0x18030114
.long 0xBF8C0F79
.long 0xD3B24014, 0x18031114
	;; [unrolled: 2-line block ×11, first 2 shown]
.long 0xBF8200AF
.long 0xBF8C0F79
.long 0xD3B24014, 0x18030114
.long 0xBF8C0F78
.long 0xD3B24014, 0x18031114
	;; [unrolled: 2-line block ×10, first 2 shown]
.long 0xBF820090
.long 0xBF8C0F78
.long 0xD3B24014, 0x18030114
.long 0xBF8C0F77
.long 0xD3B24014, 0x18031114
	;; [unrolled: 2-line block ×9, first 2 shown]
.long 0xBF820074
.long 0xBF8C0F77
.long 0xD3B24014, 0x18030114
.long 0xBF8C0F76
.long 0xD3B24014, 0x18031114
	;; [unrolled: 2-line block ×8, first 2 shown]
.long 0xBF82005B
.long 0xBF8C0F76
.long 0xD3B24014, 0x18030114
.long 0xBF8C0F75
.long 0xD3B24014, 0x18031114
	;; [unrolled: 2-line block ×7, first 2 shown]
.long 0xBF820045
.long 0xBF8C0F75
.long 0xD3B24014, 0x18030114
.long 0xBF8C0F74
.long 0xD3B24014, 0x18031114
	;; [unrolled: 2-line block ×6, first 2 shown]
.long 0xBF820032
.long 0xBF8C0F74
.long 0xD3B24014, 0x18030114
.long 0xBF8C0F73
.long 0xD3B24014, 0x18031114
	;; [unrolled: 2-line block ×5, first 2 shown]
.long 0xBF820022
.long 0xBF8C0F73
.long 0xD3B24014, 0x18030114
.long 0xBF8C0F72
.long 0xD3B24014, 0x18031114
	;; [unrolled: 2-line block ×4, first 2 shown]
.long 0xBF820015
.long 0xBF8C0F72
.long 0xD3B24014, 0x18030114
.long 0xBF8C0F71
.long 0xD3B24014, 0x18031114
	;; [unrolled: 2-line block ×3, first 2 shown]
.long 0xBF82000B
.long 0xBF8C0F71
.long 0xD3B24014, 0x18030114
.long 0xBF8C0F70
.long 0xD3B24014, 0x18031114
.long 0xBF820004
.long 0xBF8C0F70
.long 0xD3B24014, 0x18030114
.long 0xBF820000
.long 0x7E4402FF, 0x80000000
.long 0xBEE00016
.long 0xBEE10017
	;; [unrolled: 1-line block ×4, first 2 shown]
.long 0xE054D000, 0x80181A16
.long 0xBE850032
.long 0x81858105
	;; [unrolled: 1-line block ×6, first 2 shown]
.long 0xE054D000, 0x80188016
.long 0x81858105
.long 0x80605A60
.long 0x82615B61
.long 0xBF008005
.long 0xBF850276
.long 0xE054D000, 0x80188816
.long 0x81858105
.long 0x80605A60
.long 0x82615B61
.long 0xBF008005
.long 0xBF850268
	;; [unrolled: 6-line block ×14, first 2 shown]
.long 0xE054D000, 0x8018F016
.long 0xBF8C0F7E
.long 0xD3B2401A, 0x1803011A
.long 0x81858105
.long 0xBF05CE05
.long 0xBF850217
.long 0x80605A60
.long 0x82615B61
.long 0xD0C6005C, 0x00000A80
.long 0xD1000023, 0x01724516
.long 0xE054D000, 0x80188023
.long 0xBF8C0F7E
.long 0xD3B2401A, 0x1803111A
.long 0x81858105
.long 0xBF05CE05
.long 0xBF850209
.long 0x80605A60
.long 0x82615B61
.long 0xD0C6005C, 0x00000A80
.long 0xD1000023, 0x01724516
	;; [unrolled: 10-line block ×15, first 2 shown]
.long 0xE054D000, 0x8018F023
.long 0xBF02CE05
.long 0xBF85FF2C
.long 0xBF8C0F7D
.long 0xD3B2401A, 0x1803011A
.long 0xBF8C0F7C
.long 0xD3B2401A, 0x1803111A
.long 0xBF8C0F7B
	;; [unrolled: 2-line block ×14, first 2 shown]
.long 0xBF8C0F7C
.long 0xD3B2401A, 0x1803011A
.long 0xBF8C0F7B
.long 0xD3B2401A, 0x1803111A
.long 0xBF8C0F7A
.long 0xD3B2401A, 0x1803211A
.long 0xBF8C0F79
.long 0xD3B2401A, 0x1803311A
.long 0xBF8C0F78
.long 0xD3B2401A, 0x1803411A
.long 0xBF8C0F77
.long 0xD3B2401A, 0x1803511A
.long 0xBF8C0F76
.long 0xD3B2401A, 0x1803611A
.long 0xBF8C0F75
.long 0xD3B2401A, 0x1803711A
.long 0xBF8C0F74
.long 0xD3B2401A, 0x1803811A
.long 0xBF8C0F73
.long 0xD3B2401A, 0x1803911A
.long 0xBF8C0F72
.long 0xD3B2401A, 0x1803A11A
.long 0xBF8C0F71
.long 0xD3B2401A, 0x1803B11A
.long 0xBF8C0F70
.long 0xD3B2401A, 0x1803C11A
.long 0xBF8200F6
.long 0xBF8C0F7B
.long 0xD3B2401A, 0x1803011A
.long 0xBF8C0F7A
.long 0xD3B2401A, 0x1803111A
	;; [unrolled: 2-line block ×12, first 2 shown]
.long 0xBF8200D1
.long 0xBF8C0F7A
.long 0xD3B2401A, 0x1803011A
.long 0xBF8C0F79
.long 0xD3B2401A, 0x1803111A
	;; [unrolled: 2-line block ×11, first 2 shown]
.long 0xBF8200AF
.long 0xBF8C0F79
.long 0xD3B2401A, 0x1803011A
.long 0xBF8C0F78
.long 0xD3B2401A, 0x1803111A
	;; [unrolled: 2-line block ×10, first 2 shown]
.long 0xBF820090
.long 0xBF8C0F78
.long 0xD3B2401A, 0x1803011A
.long 0xBF8C0F77
.long 0xD3B2401A, 0x1803111A
	;; [unrolled: 2-line block ×9, first 2 shown]
.long 0xBF820074
.long 0xBF8C0F77
.long 0xD3B2401A, 0x1803011A
.long 0xBF8C0F76
.long 0xD3B2401A, 0x1803111A
	;; [unrolled: 2-line block ×8, first 2 shown]
.long 0xBF82005B
.long 0xBF8C0F76
.long 0xD3B2401A, 0x1803011A
.long 0xBF8C0F75
.long 0xD3B2401A, 0x1803111A
	;; [unrolled: 2-line block ×7, first 2 shown]
.long 0xBF820045
.long 0xBF8C0F75
.long 0xD3B2401A, 0x1803011A
.long 0xBF8C0F74
.long 0xD3B2401A, 0x1803111A
.long 0xBF8C0F73
.long 0xD3B2401A, 0x1803211A
.long 0xBF8C0F72
.long 0xD3B2401A, 0x1803311A
.long 0xBF8C0F71
.long 0xD3B2401A, 0x1803411A
.long 0xBF8C0F70
.long 0xD3B2401A, 0x1803511A
.long 0xBF820032
.long 0xBF8C0F74
.long 0xD3B2401A, 0x1803011A
.long 0xBF8C0F73
.long 0xD3B2401A, 0x1803111A
	;; [unrolled: 2-line block ×5, first 2 shown]
.long 0xBF820022
.long 0xBF8C0F73
.long 0xD3B2401A, 0x1803011A
.long 0xBF8C0F72
.long 0xD3B2401A, 0x1803111A
	;; [unrolled: 2-line block ×4, first 2 shown]
.long 0xBF820015
.long 0xBF8C0F72
.long 0xD3B2401A, 0x1803011A
.long 0xBF8C0F71
.long 0xD3B2401A, 0x1803111A
	;; [unrolled: 2-line block ×3, first 2 shown]
.long 0xBF82000B
.long 0xBF8C0F71
.long 0xD3B2401A, 0x1803011A
.long 0xBF8C0F70
.long 0xD3B2401A, 0x1803111A
.long 0xBF820004
.long 0xBF8C0F70
.long 0xD3B2401A, 0x1803011A
.long 0xBF820000
.long 0x7E4402FF, 0x80000000
.long 0xBEE00016
.long 0xBEE10017
	;; [unrolled: 1-line block ×4, first 2 shown]
.long 0xE054D000, 0x8018201C
.long 0xBE850032
.long 0x81858105
	;; [unrolled: 1-line block ×6, first 2 shown]
.long 0xE054D000, 0x8018801C
.long 0x81858105
.long 0x80605A60
.long 0x82615B61
.long 0xBF008005
.long 0xBF850276
.long 0xE054D000, 0x8018881C
.long 0x81858105
.long 0x80605A60
.long 0x82615B61
.long 0xBF008005
.long 0xBF850268
	;; [unrolled: 6-line block ×14, first 2 shown]
.long 0xE054D000, 0x8018F01C
.long 0xBF8C0F7E
.long 0xD3B24020, 0x18030120
.long 0x81858105
.long 0xBF05CE05
.long 0xBF850217
.long 0x80605A60
.long 0x82615B61
.long 0xD0C6005C, 0x00000A80
.long 0xD1000023, 0x0172451C
.long 0xE054D000, 0x80188023
.long 0xBF8C0F7E
.long 0xD3B24020, 0x18031120
.long 0x81858105
.long 0xBF05CE05
.long 0xBF850209
.long 0x80605A60
.long 0x82615B61
.long 0xD0C6005C, 0x00000A80
.long 0xD1000023, 0x0172451C
	;; [unrolled: 10-line block ×15, first 2 shown]
.long 0xE054D000, 0x8018F023
.long 0xBF02CE05
.long 0xBF85FF2C
	;; [unrolled: 1-line block ×3, first 2 shown]
.long 0xD3B24020, 0x18030120
.long 0xBF8C0F7C
.long 0xD3B24020, 0x18031120
.long 0xBF8C0F7B
	;; [unrolled: 2-line block ×14, first 2 shown]
.long 0xBF8C0F7C
.long 0xD3B24020, 0x18030120
.long 0xBF8C0F7B
.long 0xD3B24020, 0x18031120
	;; [unrolled: 2-line block ×13, first 2 shown]
.long 0xBF8200F6
.long 0xBF8C0F7B
.long 0xD3B24020, 0x18030120
.long 0xBF8C0F7A
.long 0xD3B24020, 0x18031120
	;; [unrolled: 2-line block ×12, first 2 shown]
.long 0xBF8200D1
.long 0xBF8C0F7A
.long 0xD3B24020, 0x18030120
.long 0xBF8C0F79
.long 0xD3B24020, 0x18031120
	;; [unrolled: 2-line block ×11, first 2 shown]
.long 0xBF8200AF
.long 0xBF8C0F79
.long 0xD3B24020, 0x18030120
.long 0xBF8C0F78
.long 0xD3B24020, 0x18031120
	;; [unrolled: 2-line block ×10, first 2 shown]
.long 0xBF820090
.long 0xBF8C0F78
.long 0xD3B24020, 0x18030120
.long 0xBF8C0F77
.long 0xD3B24020, 0x18031120
	;; [unrolled: 2-line block ×9, first 2 shown]
.long 0xBF820074
.long 0xBF8C0F77
.long 0xD3B24020, 0x18030120
.long 0xBF8C0F76
.long 0xD3B24020, 0x18031120
	;; [unrolled: 2-line block ×8, first 2 shown]
.long 0xBF82005B
.long 0xBF8C0F76
.long 0xD3B24020, 0x18030120
.long 0xBF8C0F75
.long 0xD3B24020, 0x18031120
	;; [unrolled: 2-line block ×7, first 2 shown]
.long 0xBF820045
.long 0xBF8C0F75
.long 0xD3B24020, 0x18030120
.long 0xBF8C0F74
.long 0xD3B24020, 0x18031120
	;; [unrolled: 2-line block ×6, first 2 shown]
.long 0xBF820032
.long 0xBF8C0F74
.long 0xD3B24020, 0x18030120
.long 0xBF8C0F73
.long 0xD3B24020, 0x18031120
.long 0xBF8C0F72
.long 0xD3B24020, 0x18032120
.long 0xBF8C0F71
.long 0xD3B24020, 0x18033120
.long 0xBF8C0F70
.long 0xD3B24020, 0x18034120
.long 0xBF820022
.long 0xBF8C0F73
.long 0xD3B24020, 0x18030120
.long 0xBF8C0F72
.long 0xD3B24020, 0x18031120
	;; [unrolled: 2-line block ×4, first 2 shown]
.long 0xBF820015
.long 0xBF8C0F72
.long 0xD3B24020, 0x18030120
.long 0xBF8C0F71
.long 0xD3B24020, 0x18031120
	;; [unrolled: 2-line block ×3, first 2 shown]
.long 0xBF82000B
.long 0xBF8C0F71
.long 0xD3B24020, 0x18030120
.long 0xBF8C0F70
.long 0xD3B24020, 0x18031120
.long 0xBF820004
.long 0xBF8C0F70
.long 0xD3B24020, 0x18030120
.long 0xBF820000
.long 0x0A1C1C30
	;; [unrolled: 1-line block ×10, first 2 shown]
.long 0xD0CC0038, 0x0001004A
.long 0xD100000C, 0x00E218F2
.long 0xD100000D, 0x00E21AF2
.long 0xD3B1400E, 0x18021D0C
.long 0xD3B2400E, 0x18021D0A
.long 0x0A081CFF, 0x3D372713
.long 0xD1CB0004, 0x03CA090E
.long 0x0A08090E
.long 0x0A0808FF, 0x40135761
.long 0x7E084104
.long 0xBF800000
.long 0x020808F2
.long 0x7E084504
.long 0xBF800000
.long 0xD1CB0004, 0x03D208F5
.long 0x0A08090E
.long 0x0A1C08F0
.long 0x0A081EFF, 0x3D372713
.long 0xD1CB0004, 0x03CA090F
.long 0x0A08090F
.long 0x0A0808FF, 0x40135761
.long 0x7E084104
.long 0xBF800000
.long 0x020808F2
.long 0x7E084504
.long 0xBF800000
.long 0xD1CB0004, 0x03D208F5
.long 0x0A08090F
.long 0x0A1E08F0
.long 0x7E1C150E
.long 0x7E1E150F
.long 0xD2A0000E, 0x00021F0E
.long 0xE070D000, 0x80140E07
.long 0xBF800000
.long 0xD0CC0038, 0x0001004A
.long 0xD100000C, 0x00E218F2
.long 0xD100000D, 0x00E21AF2
.long 0xD3B14014, 0x1802290C
.long 0xD3B24014, 0x1802290A
.long 0x0A0828FF, 0x3D372713
.long 0xD1CB0004, 0x03CA0914
.long 0x0A080914
.long 0x0A0808FF, 0x40135761
.long 0x7E084104
.long 0xBF800000
.long 0x020808F2
.long 0x7E084504
.long 0xBF800000
.long 0xD1CB0004, 0x03D208F5
.long 0x0A080914
.long 0x0A2808F0
.long 0x0A082AFF, 0x3D372713
.long 0xD1CB0004, 0x03CA0915
.long 0x0A080915
.long 0x0A0808FF, 0x40135761
.long 0x7E084104
.long 0xBF800000
.long 0x020808F2
.long 0x7E084504
.long 0xBF800000
.long 0xD1CB0004, 0x03D208F5
.long 0x0A080915
.long 0x0A2A08F0
.long 0x7E281514
.long 0x7E2A1515
.long 0xD2A00014, 0x00022B14
.long 0xE070D000, 0x80141411
.long 0xBF800000
	;; [unrolled: 34-line block ×4, first 2 shown]
.long 0xBF800000
.long 0xBF823955
.long 0x7E4402FF, 0x80000000
.long 0xD0C90054, 0x00003900
	;; [unrolled: 1-line block ×3, first 2 shown]
.long 0x86D85854
.long 0x925402FF, 0x00000080
.long 0xD1350008, 0x0000A900
.long 0x24101082
.long 0xD1000008, 0x01621122
.long 0xBF8CC07F
.long 0xBF8A0000
.long 0xD8EC0000, 0x0A000008
.long 0x24120082
.long 0xE0541000, 0x80120C09
.long 0xD1FE0006, 0x020A0103
	;; [unrolled: 1-line block ×10, first 2 shown]
.long 0x86D85854
.long 0x925402FF, 0x00000080
.long 0xD1350012, 0x0000A900
.long 0x24242482
.long 0xD1000012, 0x01622522
.long 0x24260082
.long 0xD1FE0010, 0x020A0103
.long 0xD1000010, 0x01622122
.long 0xD1FE0011, 0x02060103
.long 0xD1000011, 0x01622322
.long 0xD1196A01, 0x00010301
.long 0xD1340002, 0x00005502
.long 0xD1340003, 0x00005103
.long 0xD0C90054, 0x00003900
.long 0xD0C90058, 0x00003B01
.long 0x86D85854
.long 0x925402FF, 0x00000080
.long 0xD1350018, 0x0000A900
.long 0x24303082
.long 0xD1000018, 0x01623122
.long 0x24320082
.long 0xD1FE0016, 0x020A0103
.long 0xD1000016, 0x01622D22
.long 0xD1FE0017, 0x02060103
.long 0xD1000017, 0x01622F22
.long 0xD1196A01, 0x00010301
.long 0xD1340002, 0x00005502
.long 0xD1340003, 0x00005103
.long 0xD0C90054, 0x00003900
.long 0xD0C90058, 0x00003B01
	;; [unrolled: 15-line block ×3, first 2 shown]
.long 0xD3D8401B, 0x18000106
.long 0xD3D84020, 0x18000103
	;; [unrolled: 1-line block ×3, first 2 shown]
.long 0xBF800001
.long 0xE074D000, 0x80030E06
.long 0xE074D000, 0x80031410
	;; [unrolled: 1-line block ×4, first 2 shown]
.long 0xBF800000
.long 0x92421415
	;; [unrolled: 1-line block ×16, first 2 shown]
.long 0xC2330CCC, 0x00000000
.long 0x965F811C
.long 0x925E811C
	;; [unrolled: 1-line block ×15, first 2 shown]
.long 0x7E4402FF, 0x80000000
.long 0xBEE00016
.long 0xBEE10017
	;; [unrolled: 1-line block ×7, first 2 shown]
.long 0xE054D000, 0x80180E06
.long 0xBE850032
.long 0x81858105
	;; [unrolled: 1-line block ×6, first 2 shown]
.long 0xE054D000, 0x80188006
.long 0x81858105
.long 0x80605A60
.long 0x82615B61
.long 0xBF008005
.long 0xBF850276
.long 0xE054D000, 0x80188806
.long 0x81858105
.long 0x80605A60
.long 0x82615B61
.long 0xBF008005
.long 0xBF850268
	;; [unrolled: 6-line block ×14, first 2 shown]
.long 0xE054D000, 0x8018F006
.long 0xBF8C0F7E
.long 0xD3B2400E, 0x1803010E
.long 0x81858105
.long 0xBF05CE05
.long 0xBF850217
.long 0x80605A60
.long 0x82615B61
.long 0xD0C6005C, 0x00000A80
.long 0xD1000023, 0x01724506
.long 0xE054D000, 0x80188023
.long 0xBF8C0F7E
.long 0xD3B2400E, 0x1803110E
.long 0x81858105
.long 0xBF05CE05
.long 0xBF850209
.long 0x80605A60
.long 0x82615B61
.long 0xD0C6005C, 0x00000A80
.long 0xD1000023, 0x01724506
	;; [unrolled: 10-line block ×15, first 2 shown]
.long 0xE054D000, 0x8018F023
.long 0xBF02CE05
.long 0xBF85FF2C
	;; [unrolled: 1-line block ×3, first 2 shown]
.long 0xD3B2400E, 0x1803010E
.long 0xBF8C0F7C
.long 0xD3B2400E, 0x1803110E
.long 0xBF8C0F7B
	;; [unrolled: 2-line block ×14, first 2 shown]
.long 0xBF8C0F7C
.long 0xD3B2400E, 0x1803010E
.long 0xBF8C0F7B
.long 0xD3B2400E, 0x1803110E
	;; [unrolled: 2-line block ×13, first 2 shown]
.long 0xBF8200F6
.long 0xBF8C0F7B
.long 0xD3B2400E, 0x1803010E
.long 0xBF8C0F7A
.long 0xD3B2400E, 0x1803110E
	;; [unrolled: 2-line block ×12, first 2 shown]
.long 0xBF8200D1
.long 0xBF8C0F7A
.long 0xD3B2400E, 0x1803010E
.long 0xBF8C0F79
.long 0xD3B2400E, 0x1803110E
	;; [unrolled: 2-line block ×11, first 2 shown]
.long 0xBF8200AF
.long 0xBF8C0F79
.long 0xD3B2400E, 0x1803010E
.long 0xBF8C0F78
.long 0xD3B2400E, 0x1803110E
.long 0xBF8C0F77
.long 0xD3B2400E, 0x1803210E
.long 0xBF8C0F76
.long 0xD3B2400E, 0x1803310E
.long 0xBF8C0F75
.long 0xD3B2400E, 0x1803410E
.long 0xBF8C0F74
.long 0xD3B2400E, 0x1803510E
.long 0xBF8C0F73
.long 0xD3B2400E, 0x1803610E
.long 0xBF8C0F72
.long 0xD3B2400E, 0x1803710E
.long 0xBF8C0F71
.long 0xD3B2400E, 0x1803810E
.long 0xBF8C0F70
.long 0xD3B2400E, 0x1803910E
.long 0xBF820090
.long 0xBF8C0F78
.long 0xD3B2400E, 0x1803010E
.long 0xBF8C0F77
.long 0xD3B2400E, 0x1803110E
	;; [unrolled: 2-line block ×9, first 2 shown]
.long 0xBF820074
.long 0xBF8C0F77
.long 0xD3B2400E, 0x1803010E
.long 0xBF8C0F76
.long 0xD3B2400E, 0x1803110E
	;; [unrolled: 2-line block ×8, first 2 shown]
.long 0xBF82005B
.long 0xBF8C0F76
.long 0xD3B2400E, 0x1803010E
.long 0xBF8C0F75
.long 0xD3B2400E, 0x1803110E
	;; [unrolled: 2-line block ×7, first 2 shown]
.long 0xBF820045
.long 0xBF8C0F75
.long 0xD3B2400E, 0x1803010E
.long 0xBF8C0F74
.long 0xD3B2400E, 0x1803110E
	;; [unrolled: 2-line block ×6, first 2 shown]
.long 0xBF820032
.long 0xBF8C0F74
.long 0xD3B2400E, 0x1803010E
.long 0xBF8C0F73
.long 0xD3B2400E, 0x1803110E
	;; [unrolled: 2-line block ×5, first 2 shown]
.long 0xBF820022
.long 0xBF8C0F73
.long 0xD3B2400E, 0x1803010E
.long 0xBF8C0F72
.long 0xD3B2400E, 0x1803110E
	;; [unrolled: 2-line block ×4, first 2 shown]
.long 0xBF820015
.long 0xBF8C0F72
.long 0xD3B2400E, 0x1803010E
.long 0xBF8C0F71
.long 0xD3B2400E, 0x1803110E
.long 0xBF8C0F70
.long 0xD3B2400E, 0x1803210E
.long 0xBF82000B
.long 0xBF8C0F71
.long 0xD3B2400E, 0x1803010E
.long 0xBF8C0F70
.long 0xD3B2400E, 0x1803110E
.long 0xBF820004
.long 0xBF8C0F70
.long 0xD3B2400E, 0x1803010E
.long 0xBF820000
.long 0x7E4402FF, 0x80000000
.long 0xBEE00016
.long 0xBEE10017
	;; [unrolled: 1-line block ×4, first 2 shown]
.long 0xE054D000, 0x80181410
.long 0xBE850032
.long 0x81858105
	;; [unrolled: 1-line block ×6, first 2 shown]
.long 0xE054D000, 0x80188010
.long 0x81858105
.long 0x80605A60
.long 0x82615B61
.long 0xBF008005
.long 0xBF850276
.long 0xE054D000, 0x80188810
.long 0x81858105
.long 0x80605A60
.long 0x82615B61
.long 0xBF008005
.long 0xBF850268
	;; [unrolled: 6-line block ×14, first 2 shown]
.long 0xE054D000, 0x8018F010
.long 0xBF8C0F7E
.long 0xD3B24014, 0x18030114
.long 0x81858105
.long 0xBF05CE05
.long 0xBF850217
.long 0x80605A60
.long 0x82615B61
.long 0xD0C6005C, 0x00000A80
.long 0xD1000023, 0x01724510
.long 0xE054D000, 0x80188023
.long 0xBF8C0F7E
.long 0xD3B24014, 0x18031114
.long 0x81858105
.long 0xBF05CE05
.long 0xBF850209
.long 0x80605A60
.long 0x82615B61
.long 0xD0C6005C, 0x00000A80
.long 0xD1000023, 0x01724510
	;; [unrolled: 10-line block ×15, first 2 shown]
.long 0xE054D000, 0x8018F023
.long 0xBF02CE05
.long 0xBF85FF2C
	;; [unrolled: 1-line block ×3, first 2 shown]
.long 0xD3B24014, 0x18030114
.long 0xBF8C0F7C
.long 0xD3B24014, 0x18031114
.long 0xBF8C0F7B
	;; [unrolled: 2-line block ×14, first 2 shown]
.long 0xBF8C0F7C
.long 0xD3B24014, 0x18030114
.long 0xBF8C0F7B
.long 0xD3B24014, 0x18031114
	;; [unrolled: 2-line block ×13, first 2 shown]
.long 0xBF8200F6
.long 0xBF8C0F7B
.long 0xD3B24014, 0x18030114
.long 0xBF8C0F7A
.long 0xD3B24014, 0x18031114
	;; [unrolled: 2-line block ×12, first 2 shown]
.long 0xBF8200D1
.long 0xBF8C0F7A
.long 0xD3B24014, 0x18030114
.long 0xBF8C0F79
.long 0xD3B24014, 0x18031114
	;; [unrolled: 2-line block ×11, first 2 shown]
.long 0xBF8200AF
.long 0xBF8C0F79
.long 0xD3B24014, 0x18030114
.long 0xBF8C0F78
.long 0xD3B24014, 0x18031114
	;; [unrolled: 2-line block ×10, first 2 shown]
.long 0xBF820090
.long 0xBF8C0F78
.long 0xD3B24014, 0x18030114
.long 0xBF8C0F77
.long 0xD3B24014, 0x18031114
	;; [unrolled: 2-line block ×9, first 2 shown]
.long 0xBF820074
.long 0xBF8C0F77
.long 0xD3B24014, 0x18030114
.long 0xBF8C0F76
.long 0xD3B24014, 0x18031114
	;; [unrolled: 2-line block ×8, first 2 shown]
.long 0xBF82005B
.long 0xBF8C0F76
.long 0xD3B24014, 0x18030114
.long 0xBF8C0F75
.long 0xD3B24014, 0x18031114
	;; [unrolled: 2-line block ×7, first 2 shown]
.long 0xBF820045
.long 0xBF8C0F75
.long 0xD3B24014, 0x18030114
.long 0xBF8C0F74
.long 0xD3B24014, 0x18031114
	;; [unrolled: 2-line block ×6, first 2 shown]
.long 0xBF820032
.long 0xBF8C0F74
.long 0xD3B24014, 0x18030114
.long 0xBF8C0F73
.long 0xD3B24014, 0x18031114
.long 0xBF8C0F72
.long 0xD3B24014, 0x18032114
.long 0xBF8C0F71
.long 0xD3B24014, 0x18033114
.long 0xBF8C0F70
.long 0xD3B24014, 0x18034114
.long 0xBF820022
.long 0xBF8C0F73
.long 0xD3B24014, 0x18030114
.long 0xBF8C0F72
.long 0xD3B24014, 0x18031114
	;; [unrolled: 2-line block ×4, first 2 shown]
.long 0xBF820015
.long 0xBF8C0F72
.long 0xD3B24014, 0x18030114
.long 0xBF8C0F71
.long 0xD3B24014, 0x18031114
	;; [unrolled: 2-line block ×3, first 2 shown]
.long 0xBF82000B
.long 0xBF8C0F71
.long 0xD3B24014, 0x18030114
.long 0xBF8C0F70
.long 0xD3B24014, 0x18031114
.long 0xBF820004
.long 0xBF8C0F70
.long 0xD3B24014, 0x18030114
.long 0xBF820000
.long 0x7E4402FF, 0x80000000
.long 0xBEE00016
.long 0xBEE10017
	;; [unrolled: 1-line block ×4, first 2 shown]
.long 0xE054D000, 0x80181A16
.long 0xBE850032
.long 0x81858105
	;; [unrolled: 1-line block ×6, first 2 shown]
.long 0xE054D000, 0x80188016
.long 0x81858105
.long 0x80605A60
.long 0x82615B61
.long 0xBF008005
.long 0xBF850276
.long 0xE054D000, 0x80188816
.long 0x81858105
.long 0x80605A60
.long 0x82615B61
.long 0xBF008005
.long 0xBF850268
	;; [unrolled: 6-line block ×14, first 2 shown]
.long 0xE054D000, 0x8018F016
.long 0xBF8C0F7E
.long 0xD3B2401A, 0x1803011A
.long 0x81858105
.long 0xBF05CE05
.long 0xBF850217
.long 0x80605A60
.long 0x82615B61
.long 0xD0C6005C, 0x00000A80
.long 0xD1000023, 0x01724516
.long 0xE054D000, 0x80188023
.long 0xBF8C0F7E
.long 0xD3B2401A, 0x1803111A
.long 0x81858105
.long 0xBF05CE05
.long 0xBF850209
.long 0x80605A60
.long 0x82615B61
.long 0xD0C6005C, 0x00000A80
.long 0xD1000023, 0x01724516
.long 0xE054D000, 0x80188823
.long 0xBF8C0F7E
.long 0xD3B2401A, 0x1803211A
.long 0x81858105
.long 0xBF05CE05
.long 0xBF8501FB
.long 0x80605A60
.long 0x82615B61
.long 0xD0C6005C, 0x00000A80
.long 0xD1000023, 0x01724516
.long 0xE054D000, 0x80189023
.long 0xBF8C0F7E
.long 0xD3B2401A, 0x1803311A
.long 0x81858105
.long 0xBF05CE05
.long 0xBF8501ED
.long 0x80605A60
.long 0x82615B61
.long 0xD0C6005C, 0x00000A80
.long 0xD1000023, 0x01724516
.long 0xE054D000, 0x80189823
.long 0xBF8C0F7E
.long 0xD3B2401A, 0x1803411A
.long 0x81858105
.long 0xBF05CE05
.long 0xBF8501DF
.long 0x80605A60
.long 0x82615B61
.long 0xD0C6005C, 0x00000A80
.long 0xD1000023, 0x01724516
.long 0xE054D000, 0x8018A023
.long 0xBF8C0F7E
.long 0xD3B2401A, 0x1803511A
.long 0x81858105
.long 0xBF05CE05
.long 0xBF8501D1
.long 0x80605A60
.long 0x82615B61
.long 0xD0C6005C, 0x00000A80
.long 0xD1000023, 0x01724516
.long 0xE054D000, 0x8018A823
.long 0xBF8C0F7E
.long 0xD3B2401A, 0x1803611A
.long 0x81858105
.long 0xBF05CE05
.long 0xBF8501C3
.long 0x80605A60
.long 0x82615B61
.long 0xD0C6005C, 0x00000A80
.long 0xD1000023, 0x01724516
.long 0xE054D000, 0x8018B023
.long 0xBF8C0F7E
.long 0xD3B2401A, 0x1803711A
.long 0x81858105
.long 0xBF05CE05
.long 0xBF8501B5
.long 0x80605A60
.long 0x82615B61
.long 0xD0C6005C, 0x00000A80
.long 0xD1000023, 0x01724516
.long 0xE054D000, 0x8018B823
.long 0xBF8C0F7E
.long 0xD3B2401A, 0x1803811A
.long 0x81858105
.long 0xBF05CE05
.long 0xBF8501A7
.long 0x80605A60
.long 0x82615B61
.long 0xD0C6005C, 0x00000A80
.long 0xD1000023, 0x01724516
.long 0xE054D000, 0x8018C023
.long 0xBF8C0F7E
.long 0xD3B2401A, 0x1803911A
.long 0x81858105
.long 0xBF05CE05
.long 0xBF850199
.long 0x80605A60
.long 0x82615B61
.long 0xD0C6005C, 0x00000A80
.long 0xD1000023, 0x01724516
.long 0xE054D000, 0x8018C823
.long 0xBF8C0F7E
.long 0xD3B2401A, 0x1803A11A
.long 0x81858105
.long 0xBF05CE05
.long 0xBF85018B
.long 0x80605A60
.long 0x82615B61
.long 0xD0C6005C, 0x00000A80
.long 0xD1000023, 0x01724516
.long 0xE054D000, 0x8018D023
.long 0xBF8C0F7E
.long 0xD3B2401A, 0x1803B11A
.long 0x81858105
.long 0xBF05CE05
.long 0xBF85017D
.long 0x80605A60
.long 0x82615B61
.long 0xD0C6005C, 0x00000A80
.long 0xD1000023, 0x01724516
.long 0xE054D000, 0x8018D823
.long 0xBF8C0F7E
.long 0xD3B2401A, 0x1803C11A
.long 0x81858105
.long 0xBF05CE05
.long 0xBF85016F
.long 0x80605A60
.long 0x82615B61
.long 0xD0C6005C, 0x00000A80
.long 0xD1000023, 0x01724516
.long 0xE054D000, 0x8018E023
.long 0xBF8C0F7E
.long 0xD3B2401A, 0x1803D11A
.long 0x81858105
.long 0xBF05CE05
.long 0xBF850161
.long 0x80605A60
.long 0x82615B61
.long 0xD0C6005C, 0x00000A80
.long 0xD1000023, 0x01724516
.long 0xE054D000, 0x8018E823
.long 0xBF8C0F7E
.long 0xD3B2401A, 0x1803E11A
.long 0x81858105
.long 0xBF05CE05
.long 0xBF850153
.long 0x80605A60
.long 0x82615B61
.long 0xD0C6005C, 0x00000A80
.long 0xD1000023, 0x01724516
.long 0xE054D000, 0x8018F023
.long 0xBF02CE05
.long 0xBF85FF2C
	;; [unrolled: 1-line block ×3, first 2 shown]
.long 0xD3B2401A, 0x1803011A
.long 0xBF8C0F7C
.long 0xD3B2401A, 0x1803111A
.long 0xBF8C0F7B
	;; [unrolled: 2-line block ×14, first 2 shown]
.long 0xBF8C0F7C
.long 0xD3B2401A, 0x1803011A
.long 0xBF8C0F7B
.long 0xD3B2401A, 0x1803111A
	;; [unrolled: 2-line block ×13, first 2 shown]
.long 0xBF8200F6
.long 0xBF8C0F7B
.long 0xD3B2401A, 0x1803011A
.long 0xBF8C0F7A
.long 0xD3B2401A, 0x1803111A
	;; [unrolled: 2-line block ×12, first 2 shown]
.long 0xBF8200D1
.long 0xBF8C0F7A
.long 0xD3B2401A, 0x1803011A
.long 0xBF8C0F79
.long 0xD3B2401A, 0x1803111A
	;; [unrolled: 2-line block ×11, first 2 shown]
.long 0xBF8200AF
.long 0xBF8C0F79
.long 0xD3B2401A, 0x1803011A
.long 0xBF8C0F78
.long 0xD3B2401A, 0x1803111A
	;; [unrolled: 2-line block ×10, first 2 shown]
.long 0xBF820090
.long 0xBF8C0F78
.long 0xD3B2401A, 0x1803011A
.long 0xBF8C0F77
.long 0xD3B2401A, 0x1803111A
	;; [unrolled: 2-line block ×9, first 2 shown]
.long 0xBF820074
.long 0xBF8C0F77
.long 0xD3B2401A, 0x1803011A
.long 0xBF8C0F76
.long 0xD3B2401A, 0x1803111A
	;; [unrolled: 2-line block ×8, first 2 shown]
.long 0xBF82005B
.long 0xBF8C0F76
.long 0xD3B2401A, 0x1803011A
.long 0xBF8C0F75
.long 0xD3B2401A, 0x1803111A
	;; [unrolled: 2-line block ×7, first 2 shown]
.long 0xBF820045
.long 0xBF8C0F75
.long 0xD3B2401A, 0x1803011A
.long 0xBF8C0F74
.long 0xD3B2401A, 0x1803111A
	;; [unrolled: 2-line block ×6, first 2 shown]
.long 0xBF820032
.long 0xBF8C0F74
.long 0xD3B2401A, 0x1803011A
.long 0xBF8C0F73
.long 0xD3B2401A, 0x1803111A
	;; [unrolled: 2-line block ×5, first 2 shown]
.long 0xBF820022
.long 0xBF8C0F73
.long 0xD3B2401A, 0x1803011A
.long 0xBF8C0F72
.long 0xD3B2401A, 0x1803111A
	;; [unrolled: 2-line block ×4, first 2 shown]
.long 0xBF820015
.long 0xBF8C0F72
.long 0xD3B2401A, 0x1803011A
.long 0xBF8C0F71
.long 0xD3B2401A, 0x1803111A
	;; [unrolled: 2-line block ×3, first 2 shown]
.long 0xBF82000B
.long 0xBF8C0F71
.long 0xD3B2401A, 0x1803011A
.long 0xBF8C0F70
.long 0xD3B2401A, 0x1803111A
.long 0xBF820004
.long 0xBF8C0F70
.long 0xD3B2401A, 0x1803011A
.long 0xBF820000
.long 0x7E4402FF, 0x80000000
.long 0xBEE00016
.long 0xBEE10017
	;; [unrolled: 1-line block ×4, first 2 shown]
.long 0xE054D000, 0x8018201C
.long 0xBE850032
.long 0x81858105
	;; [unrolled: 1-line block ×6, first 2 shown]
.long 0xE054D000, 0x8018801C
.long 0x81858105
.long 0x80605A60
.long 0x82615B61
.long 0xBF008005
.long 0xBF850276
.long 0xE054D000, 0x8018881C
.long 0x81858105
.long 0x80605A60
.long 0x82615B61
.long 0xBF008005
.long 0xBF850268
	;; [unrolled: 6-line block ×14, first 2 shown]
.long 0xE054D000, 0x8018F01C
.long 0xBF8C0F7E
.long 0xD3B24020, 0x18030120
.long 0x81858105
.long 0xBF05CE05
.long 0xBF850217
.long 0x80605A60
.long 0x82615B61
.long 0xD0C6005C, 0x00000A80
.long 0xD1000023, 0x0172451C
.long 0xE054D000, 0x80188023
.long 0xBF8C0F7E
.long 0xD3B24020, 0x18031120
.long 0x81858105
.long 0xBF05CE05
.long 0xBF850209
.long 0x80605A60
.long 0x82615B61
.long 0xD0C6005C, 0x00000A80
.long 0xD1000023, 0x0172451C
	;; [unrolled: 10-line block ×15, first 2 shown]
.long 0xE054D000, 0x8018F023
.long 0xBF02CE05
.long 0xBF85FF2C
	;; [unrolled: 1-line block ×3, first 2 shown]
.long 0xD3B24020, 0x18030120
.long 0xBF8C0F7C
.long 0xD3B24020, 0x18031120
.long 0xBF8C0F7B
	;; [unrolled: 2-line block ×14, first 2 shown]
.long 0xBF8C0F7C
.long 0xD3B24020, 0x18030120
.long 0xBF8C0F7B
.long 0xD3B24020, 0x18031120
.long 0xBF8C0F7A
.long 0xD3B24020, 0x18032120
.long 0xBF8C0F79
.long 0xD3B24020, 0x18033120
.long 0xBF8C0F78
.long 0xD3B24020, 0x18034120
.long 0xBF8C0F77
.long 0xD3B24020, 0x18035120
.long 0xBF8C0F76
.long 0xD3B24020, 0x18036120
.long 0xBF8C0F75
.long 0xD3B24020, 0x18037120
.long 0xBF8C0F74
.long 0xD3B24020, 0x18038120
.long 0xBF8C0F73
.long 0xD3B24020, 0x18039120
.long 0xBF8C0F72
.long 0xD3B24020, 0x1803A120
.long 0xBF8C0F71
.long 0xD3B24020, 0x1803B120
.long 0xBF8C0F70
.long 0xD3B24020, 0x1803C120
.long 0xBF8200F6
.long 0xBF8C0F7B
.long 0xD3B24020, 0x18030120
.long 0xBF8C0F7A
.long 0xD3B24020, 0x18031120
	;; [unrolled: 2-line block ×12, first 2 shown]
.long 0xBF8200D1
.long 0xBF8C0F7A
.long 0xD3B24020, 0x18030120
.long 0xBF8C0F79
.long 0xD3B24020, 0x18031120
	;; [unrolled: 2-line block ×11, first 2 shown]
.long 0xBF8200AF
.long 0xBF8C0F79
.long 0xD3B24020, 0x18030120
.long 0xBF8C0F78
.long 0xD3B24020, 0x18031120
	;; [unrolled: 2-line block ×10, first 2 shown]
.long 0xBF820090
.long 0xBF8C0F78
.long 0xD3B24020, 0x18030120
.long 0xBF8C0F77
.long 0xD3B24020, 0x18031120
	;; [unrolled: 2-line block ×9, first 2 shown]
.long 0xBF820074
.long 0xBF8C0F77
.long 0xD3B24020, 0x18030120
.long 0xBF8C0F76
.long 0xD3B24020, 0x18031120
	;; [unrolled: 2-line block ×8, first 2 shown]
.long 0xBF82005B
.long 0xBF8C0F76
.long 0xD3B24020, 0x18030120
.long 0xBF8C0F75
.long 0xD3B24020, 0x18031120
	;; [unrolled: 2-line block ×7, first 2 shown]
.long 0xBF820045
.long 0xBF8C0F75
.long 0xD3B24020, 0x18030120
.long 0xBF8C0F74
.long 0xD3B24020, 0x18031120
	;; [unrolled: 2-line block ×6, first 2 shown]
.long 0xBF820032
.long 0xBF8C0F74
.long 0xD3B24020, 0x18030120
.long 0xBF8C0F73
.long 0xD3B24020, 0x18031120
	;; [unrolled: 2-line block ×5, first 2 shown]
.long 0xBF820022
.long 0xBF8C0F73
.long 0xD3B24020, 0x18030120
.long 0xBF8C0F72
.long 0xD3B24020, 0x18031120
.long 0xBF8C0F71
.long 0xD3B24020, 0x18032120
.long 0xBF8C0F70
.long 0xD3B24020, 0x18033120
.long 0xBF820015
.long 0xBF8C0F72
.long 0xD3B24020, 0x18030120
.long 0xBF8C0F71
.long 0xD3B24020, 0x18031120
	;; [unrolled: 2-line block ×3, first 2 shown]
.long 0xBF82000B
.long 0xBF8C0F71
.long 0xD3B24020, 0x18030120
.long 0xBF8C0F70
.long 0xD3B24020, 0x18031120
.long 0xBF820004
.long 0xBF8C0F70
.long 0xD3B24020, 0x18030120
.long 0xBF820000
.long 0x0A1C1C30
	;; [unrolled: 1-line block ×10, first 2 shown]
.long 0xD0CC0038, 0x0001004A
.long 0xD100000C, 0x00E218F2
.long 0xD100000D, 0x00E21AF2
.long 0xD3B1400E, 0x18021D0C
.long 0xD3B2400E, 0x18021D0A
.long 0x0A081C3E
.long 0xD046006A, 0x0001010E
.long 0x001C1D04
.long 0x0A081E3E
.long 0xD046006A, 0x0001010F
.long 0x001E1F04
.long 0x7E1C150E
.long 0x7E1E150F
.long 0xD2A0000E, 0x00021F0E
.long 0xE070D000, 0x80140E07
.long 0xBF800000
.long 0xD0CC0038, 0x0001004A
.long 0xD100000C, 0x00E218F2
.long 0xD100000D, 0x00E21AF2
.long 0xD3B14014, 0x1802290C
.long 0xD3B24014, 0x1802290A
.long 0x0A08283E
.long 0xD046006A, 0x00010114
.long 0x00282904
.long 0x0A082A3E
.long 0xD046006A, 0x00010115
.long 0x002A2B04
.long 0x7E281514
.long 0x7E2A1515
.long 0xD2A00014, 0x00022B14
.long 0xE070D000, 0x80141411
.long 0xBF800000
	;; [unrolled: 16-line block ×4, first 2 shown]
.long 0xBF800000
.long 0xBF822DFF
.long 0x7E4402FF, 0x80000000
.long 0xD0C90054, 0x00003900
	;; [unrolled: 1-line block ×3, first 2 shown]
.long 0x86D85854
.long 0x925402FF, 0x00000080
.long 0xD1350008, 0x0000A900
.long 0x24101082
.long 0xD1000008, 0x01621122
.long 0xBF8CC07F
.long 0xBF8A0000
.long 0xD8EC0000, 0x0A000008
.long 0x24120082
.long 0xE0541000, 0x80120C09
.long 0xD1FE0006, 0x020A0103
	;; [unrolled: 1-line block ×10, first 2 shown]
.long 0x86D85854
.long 0x925402FF, 0x00000080
.long 0xD1350012, 0x0000A900
.long 0x24242482
.long 0xD1000012, 0x01622522
.long 0x24260082
.long 0xD1FE0010, 0x020A0103
.long 0xD1000010, 0x01622122
.long 0xD1FE0011, 0x02060103
.long 0xD1000011, 0x01622322
.long 0xD1196A01, 0x00010301
.long 0xD1340002, 0x00005502
.long 0xD1340003, 0x00005103
.long 0xD0C90054, 0x00003900
.long 0xD0C90058, 0x00003B01
.long 0x86D85854
.long 0x925402FF, 0x00000080
.long 0xD1350018, 0x0000A900
.long 0x24303082
.long 0xD1000018, 0x01623122
.long 0x24320082
.long 0xD1FE0016, 0x020A0103
.long 0xD1000016, 0x01622D22
.long 0xD1FE0017, 0x02060103
.long 0xD1000017, 0x01622F22
.long 0xD1196A01, 0x00010301
.long 0xD1340002, 0x00005502
.long 0xD1340003, 0x00005103
.long 0xD0C90054, 0x00003900
.long 0xD0C90058, 0x00003B01
	;; [unrolled: 15-line block ×3, first 2 shown]
.long 0xD3D8401B, 0x18000106
.long 0xD3D84020, 0x18000103
	;; [unrolled: 1-line block ×3, first 2 shown]
.long 0xBF800001
.long 0xE074D000, 0x80030E06
.long 0xE074D000, 0x80031410
	;; [unrolled: 1-line block ×4, first 2 shown]
.long 0xBF800000
.long 0x92421415
	;; [unrolled: 1-line block ×16, first 2 shown]
.long 0xC2330CCC, 0x00000000
.long 0x965F811C
.long 0x925E811C
	;; [unrolled: 1-line block ×15, first 2 shown]
.long 0x7E4402FF, 0x80000000
.long 0xBEE00016
.long 0xBEE10017
	;; [unrolled: 1-line block ×7, first 2 shown]
.long 0xE054D000, 0x80180E06
.long 0xBE850032
.long 0x81858105
	;; [unrolled: 1-line block ×6, first 2 shown]
.long 0xE054D000, 0x80188006
.long 0x81858105
.long 0x80605A60
.long 0x82615B61
.long 0xBF008005
.long 0xBF850276
.long 0xE054D000, 0x80188806
.long 0x81858105
.long 0x80605A60
.long 0x82615B61
.long 0xBF008005
.long 0xBF850268
	;; [unrolled: 6-line block ×14, first 2 shown]
.long 0xE054D000, 0x8018F006
.long 0xBF8C0F7E
.long 0xD3B2400E, 0x1803010E
.long 0x81858105
.long 0xBF05CE05
.long 0xBF850217
.long 0x80605A60
.long 0x82615B61
.long 0xD0C6005C, 0x00000A80
.long 0xD1000023, 0x01724506
.long 0xE054D000, 0x80188023
.long 0xBF8C0F7E
.long 0xD3B2400E, 0x1803110E
.long 0x81858105
.long 0xBF05CE05
.long 0xBF850209
.long 0x80605A60
.long 0x82615B61
.long 0xD0C6005C, 0x00000A80
.long 0xD1000023, 0x01724506
	;; [unrolled: 10-line block ×15, first 2 shown]
.long 0xE054D000, 0x8018F023
.long 0xBF02CE05
.long 0xBF85FF2C
	;; [unrolled: 1-line block ×3, first 2 shown]
.long 0xD3B2400E, 0x1803010E
.long 0xBF8C0F7C
.long 0xD3B2400E, 0x1803110E
.long 0xBF8C0F7B
	;; [unrolled: 2-line block ×14, first 2 shown]
.long 0xBF8C0F7C
.long 0xD3B2400E, 0x1803010E
.long 0xBF8C0F7B
.long 0xD3B2400E, 0x1803110E
	;; [unrolled: 2-line block ×13, first 2 shown]
.long 0xBF8200F6
.long 0xBF8C0F7B
.long 0xD3B2400E, 0x1803010E
.long 0xBF8C0F7A
.long 0xD3B2400E, 0x1803110E
	;; [unrolled: 2-line block ×12, first 2 shown]
.long 0xBF8200D1
.long 0xBF8C0F7A
.long 0xD3B2400E, 0x1803010E
.long 0xBF8C0F79
.long 0xD3B2400E, 0x1803110E
	;; [unrolled: 2-line block ×11, first 2 shown]
.long 0xBF8200AF
.long 0xBF8C0F79
.long 0xD3B2400E, 0x1803010E
.long 0xBF8C0F78
.long 0xD3B2400E, 0x1803110E
	;; [unrolled: 2-line block ×10, first 2 shown]
.long 0xBF820090
.long 0xBF8C0F78
.long 0xD3B2400E, 0x1803010E
.long 0xBF8C0F77
.long 0xD3B2400E, 0x1803110E
	;; [unrolled: 2-line block ×9, first 2 shown]
.long 0xBF820074
.long 0xBF8C0F77
.long 0xD3B2400E, 0x1803010E
.long 0xBF8C0F76
.long 0xD3B2400E, 0x1803110E
	;; [unrolled: 2-line block ×8, first 2 shown]
.long 0xBF82005B
.long 0xBF8C0F76
.long 0xD3B2400E, 0x1803010E
.long 0xBF8C0F75
.long 0xD3B2400E, 0x1803110E
	;; [unrolled: 2-line block ×7, first 2 shown]
.long 0xBF820045
.long 0xBF8C0F75
.long 0xD3B2400E, 0x1803010E
.long 0xBF8C0F74
.long 0xD3B2400E, 0x1803110E
	;; [unrolled: 2-line block ×6, first 2 shown]
.long 0xBF820032
.long 0xBF8C0F74
.long 0xD3B2400E, 0x1803010E
.long 0xBF8C0F73
.long 0xD3B2400E, 0x1803110E
	;; [unrolled: 2-line block ×5, first 2 shown]
.long 0xBF820022
.long 0xBF8C0F73
.long 0xD3B2400E, 0x1803010E
.long 0xBF8C0F72
.long 0xD3B2400E, 0x1803110E
	;; [unrolled: 2-line block ×4, first 2 shown]
.long 0xBF820015
.long 0xBF8C0F72
.long 0xD3B2400E, 0x1803010E
.long 0xBF8C0F71
.long 0xD3B2400E, 0x1803110E
	;; [unrolled: 2-line block ×3, first 2 shown]
.long 0xBF82000B
.long 0xBF8C0F71
.long 0xD3B2400E, 0x1803010E
.long 0xBF8C0F70
.long 0xD3B2400E, 0x1803110E
.long 0xBF820004
.long 0xBF8C0F70
.long 0xD3B2400E, 0x1803010E
.long 0xBF820000
.long 0x7E4402FF, 0x80000000
.long 0xBEE00016
.long 0xBEE10017
	;; [unrolled: 1-line block ×4, first 2 shown]
.long 0xE054D000, 0x80181410
.long 0xBE850032
.long 0x81858105
	;; [unrolled: 1-line block ×6, first 2 shown]
.long 0xE054D000, 0x80188010
.long 0x81858105
.long 0x80605A60
.long 0x82615B61
.long 0xBF008005
.long 0xBF850276
.long 0xE054D000, 0x80188810
.long 0x81858105
.long 0x80605A60
.long 0x82615B61
.long 0xBF008005
.long 0xBF850268
	;; [unrolled: 6-line block ×14, first 2 shown]
.long 0xE054D000, 0x8018F010
.long 0xBF8C0F7E
.long 0xD3B24014, 0x18030114
.long 0x81858105
.long 0xBF05CE05
.long 0xBF850217
.long 0x80605A60
.long 0x82615B61
.long 0xD0C6005C, 0x00000A80
.long 0xD1000023, 0x01724510
.long 0xE054D000, 0x80188023
.long 0xBF8C0F7E
.long 0xD3B24014, 0x18031114
.long 0x81858105
.long 0xBF05CE05
.long 0xBF850209
.long 0x80605A60
.long 0x82615B61
.long 0xD0C6005C, 0x00000A80
.long 0xD1000023, 0x01724510
	;; [unrolled: 10-line block ×15, first 2 shown]
.long 0xE054D000, 0x8018F023
.long 0xBF02CE05
.long 0xBF85FF2C
	;; [unrolled: 1-line block ×3, first 2 shown]
.long 0xD3B24014, 0x18030114
.long 0xBF8C0F7C
.long 0xD3B24014, 0x18031114
.long 0xBF8C0F7B
	;; [unrolled: 2-line block ×14, first 2 shown]
.long 0xBF8C0F7C
.long 0xD3B24014, 0x18030114
.long 0xBF8C0F7B
.long 0xD3B24014, 0x18031114
	;; [unrolled: 2-line block ×13, first 2 shown]
.long 0xBF8200F6
.long 0xBF8C0F7B
.long 0xD3B24014, 0x18030114
.long 0xBF8C0F7A
.long 0xD3B24014, 0x18031114
	;; [unrolled: 2-line block ×12, first 2 shown]
.long 0xBF8200D1
.long 0xBF8C0F7A
.long 0xD3B24014, 0x18030114
.long 0xBF8C0F79
.long 0xD3B24014, 0x18031114
	;; [unrolled: 2-line block ×11, first 2 shown]
.long 0xBF8200AF
.long 0xBF8C0F79
.long 0xD3B24014, 0x18030114
.long 0xBF8C0F78
.long 0xD3B24014, 0x18031114
.long 0xBF8C0F77
.long 0xD3B24014, 0x18032114
.long 0xBF8C0F76
.long 0xD3B24014, 0x18033114
.long 0xBF8C0F75
.long 0xD3B24014, 0x18034114
.long 0xBF8C0F74
.long 0xD3B24014, 0x18035114
.long 0xBF8C0F73
.long 0xD3B24014, 0x18036114
.long 0xBF8C0F72
.long 0xD3B24014, 0x18037114
.long 0xBF8C0F71
.long 0xD3B24014, 0x18038114
.long 0xBF8C0F70
.long 0xD3B24014, 0x18039114
.long 0xBF820090
.long 0xBF8C0F78
.long 0xD3B24014, 0x18030114
.long 0xBF8C0F77
.long 0xD3B24014, 0x18031114
	;; [unrolled: 2-line block ×9, first 2 shown]
.long 0xBF820074
.long 0xBF8C0F77
.long 0xD3B24014, 0x18030114
.long 0xBF8C0F76
.long 0xD3B24014, 0x18031114
	;; [unrolled: 2-line block ×8, first 2 shown]
.long 0xBF82005B
.long 0xBF8C0F76
.long 0xD3B24014, 0x18030114
.long 0xBF8C0F75
.long 0xD3B24014, 0x18031114
	;; [unrolled: 2-line block ×7, first 2 shown]
.long 0xBF820045
.long 0xBF8C0F75
.long 0xD3B24014, 0x18030114
.long 0xBF8C0F74
.long 0xD3B24014, 0x18031114
	;; [unrolled: 2-line block ×6, first 2 shown]
.long 0xBF820032
.long 0xBF8C0F74
.long 0xD3B24014, 0x18030114
.long 0xBF8C0F73
.long 0xD3B24014, 0x18031114
	;; [unrolled: 2-line block ×5, first 2 shown]
.long 0xBF820022
.long 0xBF8C0F73
.long 0xD3B24014, 0x18030114
.long 0xBF8C0F72
.long 0xD3B24014, 0x18031114
	;; [unrolled: 2-line block ×4, first 2 shown]
.long 0xBF820015
.long 0xBF8C0F72
.long 0xD3B24014, 0x18030114
.long 0xBF8C0F71
.long 0xD3B24014, 0x18031114
	;; [unrolled: 2-line block ×3, first 2 shown]
.long 0xBF82000B
.long 0xBF8C0F71
.long 0xD3B24014, 0x18030114
.long 0xBF8C0F70
.long 0xD3B24014, 0x18031114
.long 0xBF820004
.long 0xBF8C0F70
.long 0xD3B24014, 0x18030114
.long 0xBF820000
.long 0x7E4402FF, 0x80000000
.long 0xBEE00016
.long 0xBEE10017
	;; [unrolled: 1-line block ×4, first 2 shown]
.long 0xE054D000, 0x80181A16
.long 0xBE850032
.long 0x81858105
	;; [unrolled: 1-line block ×6, first 2 shown]
.long 0xE054D000, 0x80188016
.long 0x81858105
.long 0x80605A60
.long 0x82615B61
.long 0xBF008005
.long 0xBF850276
.long 0xE054D000, 0x80188816
.long 0x81858105
.long 0x80605A60
.long 0x82615B61
.long 0xBF008005
.long 0xBF850268
	;; [unrolled: 6-line block ×14, first 2 shown]
.long 0xE054D000, 0x8018F016
.long 0xBF8C0F7E
.long 0xD3B2401A, 0x1803011A
.long 0x81858105
.long 0xBF05CE05
.long 0xBF850217
.long 0x80605A60
.long 0x82615B61
.long 0xD0C6005C, 0x00000A80
.long 0xD1000023, 0x01724516
.long 0xE054D000, 0x80188023
.long 0xBF8C0F7E
.long 0xD3B2401A, 0x1803111A
.long 0x81858105
.long 0xBF05CE05
.long 0xBF850209
.long 0x80605A60
.long 0x82615B61
.long 0xD0C6005C, 0x00000A80
.long 0xD1000023, 0x01724516
	;; [unrolled: 10-line block ×15, first 2 shown]
.long 0xE054D000, 0x8018F023
.long 0xBF02CE05
.long 0xBF85FF2C
	;; [unrolled: 1-line block ×3, first 2 shown]
.long 0xD3B2401A, 0x1803011A
.long 0xBF8C0F7C
.long 0xD3B2401A, 0x1803111A
.long 0xBF8C0F7B
	;; [unrolled: 2-line block ×14, first 2 shown]
.long 0xBF8C0F7C
.long 0xD3B2401A, 0x1803011A
.long 0xBF8C0F7B
.long 0xD3B2401A, 0x1803111A
	;; [unrolled: 2-line block ×13, first 2 shown]
.long 0xBF8200F6
.long 0xBF8C0F7B
.long 0xD3B2401A, 0x1803011A
.long 0xBF8C0F7A
.long 0xD3B2401A, 0x1803111A
	;; [unrolled: 2-line block ×12, first 2 shown]
.long 0xBF8200D1
.long 0xBF8C0F7A
.long 0xD3B2401A, 0x1803011A
.long 0xBF8C0F79
.long 0xD3B2401A, 0x1803111A
.long 0xBF8C0F78
.long 0xD3B2401A, 0x1803211A
.long 0xBF8C0F77
.long 0xD3B2401A, 0x1803311A
.long 0xBF8C0F76
.long 0xD3B2401A, 0x1803411A
.long 0xBF8C0F75
.long 0xD3B2401A, 0x1803511A
.long 0xBF8C0F74
.long 0xD3B2401A, 0x1803611A
.long 0xBF8C0F73
.long 0xD3B2401A, 0x1803711A
.long 0xBF8C0F72
.long 0xD3B2401A, 0x1803811A
.long 0xBF8C0F71
.long 0xD3B2401A, 0x1803911A
.long 0xBF8C0F70
.long 0xD3B2401A, 0x1803A11A
.long 0xBF8200AF
.long 0xBF8C0F79
.long 0xD3B2401A, 0x1803011A
.long 0xBF8C0F78
.long 0xD3B2401A, 0x1803111A
	;; [unrolled: 2-line block ×10, first 2 shown]
.long 0xBF820090
.long 0xBF8C0F78
.long 0xD3B2401A, 0x1803011A
.long 0xBF8C0F77
.long 0xD3B2401A, 0x1803111A
	;; [unrolled: 2-line block ×9, first 2 shown]
.long 0xBF820074
.long 0xBF8C0F77
.long 0xD3B2401A, 0x1803011A
.long 0xBF8C0F76
.long 0xD3B2401A, 0x1803111A
	;; [unrolled: 2-line block ×8, first 2 shown]
.long 0xBF82005B
.long 0xBF8C0F76
.long 0xD3B2401A, 0x1803011A
.long 0xBF8C0F75
.long 0xD3B2401A, 0x1803111A
	;; [unrolled: 2-line block ×7, first 2 shown]
.long 0xBF820045
.long 0xBF8C0F75
.long 0xD3B2401A, 0x1803011A
.long 0xBF8C0F74
.long 0xD3B2401A, 0x1803111A
	;; [unrolled: 2-line block ×6, first 2 shown]
.long 0xBF820032
.long 0xBF8C0F74
.long 0xD3B2401A, 0x1803011A
.long 0xBF8C0F73
.long 0xD3B2401A, 0x1803111A
	;; [unrolled: 2-line block ×5, first 2 shown]
.long 0xBF820022
.long 0xBF8C0F73
.long 0xD3B2401A, 0x1803011A
.long 0xBF8C0F72
.long 0xD3B2401A, 0x1803111A
	;; [unrolled: 2-line block ×4, first 2 shown]
.long 0xBF820015
.long 0xBF8C0F72
.long 0xD3B2401A, 0x1803011A
.long 0xBF8C0F71
.long 0xD3B2401A, 0x1803111A
	;; [unrolled: 2-line block ×3, first 2 shown]
.long 0xBF82000B
.long 0xBF8C0F71
.long 0xD3B2401A, 0x1803011A
.long 0xBF8C0F70
.long 0xD3B2401A, 0x1803111A
.long 0xBF820004
.long 0xBF8C0F70
.long 0xD3B2401A, 0x1803011A
.long 0xBF820000
.long 0x7E4402FF, 0x80000000
.long 0xBEE00016
.long 0xBEE10017
	;; [unrolled: 1-line block ×4, first 2 shown]
.long 0xE054D000, 0x8018201C
.long 0xBE850032
.long 0x81858105
	;; [unrolled: 1-line block ×6, first 2 shown]
.long 0xE054D000, 0x8018801C
.long 0x81858105
.long 0x80605A60
.long 0x82615B61
.long 0xBF008005
.long 0xBF850276
.long 0xE054D000, 0x8018881C
.long 0x81858105
.long 0x80605A60
.long 0x82615B61
.long 0xBF008005
.long 0xBF850268
	;; [unrolled: 6-line block ×14, first 2 shown]
.long 0xE054D000, 0x8018F01C
.long 0xBF8C0F7E
.long 0xD3B24020, 0x18030120
.long 0x81858105
.long 0xBF05CE05
.long 0xBF850217
.long 0x80605A60
.long 0x82615B61
.long 0xD0C6005C, 0x00000A80
.long 0xD1000023, 0x0172451C
.long 0xE054D000, 0x80188023
.long 0xBF8C0F7E
.long 0xD3B24020, 0x18031120
.long 0x81858105
.long 0xBF05CE05
.long 0xBF850209
.long 0x80605A60
.long 0x82615B61
.long 0xD0C6005C, 0x00000A80
.long 0xD1000023, 0x0172451C
	;; [unrolled: 10-line block ×15, first 2 shown]
.long 0xE054D000, 0x8018F023
.long 0xBF02CE05
.long 0xBF85FF2C
	;; [unrolled: 1-line block ×3, first 2 shown]
.long 0xD3B24020, 0x18030120
.long 0xBF8C0F7C
.long 0xD3B24020, 0x18031120
.long 0xBF8C0F7B
.long 0xD3B24020, 0x18032120
.long 0xBF8C0F7A
.long 0xD3B24020, 0x18033120
.long 0xBF8C0F79
.long 0xD3B24020, 0x18034120
.long 0xBF8C0F78
.long 0xD3B24020, 0x18035120
.long 0xBF8C0F77
.long 0xD3B24020, 0x18036120
.long 0xBF8C0F76
.long 0xD3B24020, 0x18037120
.long 0xBF8C0F75
.long 0xD3B24020, 0x18038120
.long 0xBF8C0F74
.long 0xD3B24020, 0x18039120
.long 0xBF8C0F73
.long 0xD3B24020, 0x1803A120
.long 0xBF8C0F72
.long 0xD3B24020, 0x1803B120
.long 0xBF8C0F71
.long 0xD3B24020, 0x1803C120
.long 0xBF8C0F70
.long 0xD3B24020, 0x1803D120
.long 0xBF82011E
.long 0xBF8C0F7C
.long 0xD3B24020, 0x18030120
.long 0xBF8C0F7B
.long 0xD3B24020, 0x18031120
	;; [unrolled: 2-line block ×13, first 2 shown]
.long 0xBF8200F6
.long 0xBF8C0F7B
.long 0xD3B24020, 0x18030120
.long 0xBF8C0F7A
.long 0xD3B24020, 0x18031120
	;; [unrolled: 2-line block ×12, first 2 shown]
.long 0xBF8200D1
.long 0xBF8C0F7A
.long 0xD3B24020, 0x18030120
.long 0xBF8C0F79
.long 0xD3B24020, 0x18031120
	;; [unrolled: 2-line block ×11, first 2 shown]
.long 0xBF8200AF
.long 0xBF8C0F79
.long 0xD3B24020, 0x18030120
.long 0xBF8C0F78
.long 0xD3B24020, 0x18031120
	;; [unrolled: 2-line block ×10, first 2 shown]
.long 0xBF820090
.long 0xBF8C0F78
.long 0xD3B24020, 0x18030120
.long 0xBF8C0F77
.long 0xD3B24020, 0x18031120
.long 0xBF8C0F76
.long 0xD3B24020, 0x18032120
.long 0xBF8C0F75
.long 0xD3B24020, 0x18033120
.long 0xBF8C0F74
.long 0xD3B24020, 0x18034120
.long 0xBF8C0F73
.long 0xD3B24020, 0x18035120
.long 0xBF8C0F72
.long 0xD3B24020, 0x18036120
.long 0xBF8C0F71
.long 0xD3B24020, 0x18037120
.long 0xBF8C0F70
.long 0xD3B24020, 0x18038120
.long 0xBF820074
.long 0xBF8C0F77
.long 0xD3B24020, 0x18030120
.long 0xBF8C0F76
.long 0xD3B24020, 0x18031120
	;; [unrolled: 2-line block ×8, first 2 shown]
.long 0xBF82005B
.long 0xBF8C0F76
.long 0xD3B24020, 0x18030120
.long 0xBF8C0F75
.long 0xD3B24020, 0x18031120
	;; [unrolled: 2-line block ×7, first 2 shown]
.long 0xBF820045
.long 0xBF8C0F75
.long 0xD3B24020, 0x18030120
.long 0xBF8C0F74
.long 0xD3B24020, 0x18031120
	;; [unrolled: 2-line block ×6, first 2 shown]
.long 0xBF820032
.long 0xBF8C0F74
.long 0xD3B24020, 0x18030120
.long 0xBF8C0F73
.long 0xD3B24020, 0x18031120
	;; [unrolled: 2-line block ×5, first 2 shown]
.long 0xBF820022
.long 0xBF8C0F73
.long 0xD3B24020, 0x18030120
.long 0xBF8C0F72
.long 0xD3B24020, 0x18031120
	;; [unrolled: 2-line block ×4, first 2 shown]
.long 0xBF820015
.long 0xBF8C0F72
.long 0xD3B24020, 0x18030120
.long 0xBF8C0F71
.long 0xD3B24020, 0x18031120
	;; [unrolled: 2-line block ×3, first 2 shown]
.long 0xBF82000B
.long 0xBF8C0F71
.long 0xD3B24020, 0x18030120
.long 0xBF8C0F70
.long 0xD3B24020, 0x18031120
.long 0xBF820004
.long 0xBF8C0F70
.long 0xD3B24020, 0x18030120
.long 0xBF820000
.long 0x0A1C1C30
	;; [unrolled: 1-line block ×10, first 2 shown]
.long 0xD0CC0038, 0x0001004A
.long 0xD100000C, 0x00E218F2
.long 0xD100000D, 0x00E21AF2
.long 0xD3B1400E, 0x18021D0C
.long 0xD3B2400E, 0x18021D0A
.long 0xD10B000E, 0x0001010E
.long 0xD10B000F, 0x0001010F
.long 0x7E1C150E
.long 0x7E1E150F
.long 0xD2A0000E, 0x00021F0E
.long 0xE070D000, 0x80140E07
.long 0xBF800000
.long 0xD0CC0038, 0x0001004A
.long 0xD100000C, 0x00E218F2
.long 0xD100000D, 0x00E21AF2
.long 0xD3B14014, 0x1802290C
.long 0xD3B24014, 0x1802290A
.long 0xD10B0014, 0x00010114
.long 0xD10B0015, 0x00010115
.long 0x7E281514
.long 0x7E2A1515
.long 0xD2A00014, 0x00022B14
.long 0xE070D000, 0x80141411
.long 0xBF800000
	;; [unrolled: 12-line block ×4, first 2 shown]
.long 0xBF800000
.long 0xBF8222B9
.long 0x7E4402FF, 0x80000000
.long 0xD0C90054, 0x00003900
	;; [unrolled: 1-line block ×3, first 2 shown]
.long 0x86D85854
.long 0x925402FF, 0x00000080
.long 0xD1350008, 0x0000A900
.long 0x24101082
.long 0xD1000008, 0x01621122
.long 0xBF8CC07F
.long 0xBF8A0000
.long 0xD8EC0000, 0x0A000008
.long 0x24120082
.long 0xE0541000, 0x80120C09
.long 0xD1FE0006, 0x020A0103
	;; [unrolled: 1-line block ×10, first 2 shown]
.long 0x86D85854
.long 0x925402FF, 0x00000080
.long 0xD1350012, 0x0000A900
.long 0x24242482
.long 0xD1000012, 0x01622522
.long 0x24260082
.long 0xD1FE0010, 0x020A0103
.long 0xD1000010, 0x01622122
.long 0xD1FE0011, 0x02060103
.long 0xD1000011, 0x01622322
.long 0xD1196A01, 0x00010301
.long 0xD1340002, 0x00005502
.long 0xD1340003, 0x00005103
.long 0xD0C90054, 0x00003900
.long 0xD0C90058, 0x00003B01
.long 0x86D85854
.long 0x925402FF, 0x00000080
.long 0xD1350018, 0x0000A900
.long 0x24303082
.long 0xD1000018, 0x01623122
.long 0x24320082
.long 0xD1FE0016, 0x020A0103
.long 0xD1000016, 0x01622D22
.long 0xD1FE0017, 0x02060103
.long 0xD1000017, 0x01622F22
.long 0xD1196A01, 0x00010301
.long 0xD1340002, 0x00005502
.long 0xD1340003, 0x00005103
.long 0xD0C90054, 0x00003900
.long 0xD0C90058, 0x00003B01
	;; [unrolled: 15-line block ×3, first 2 shown]
.long 0xD3D8401B, 0x18000106
.long 0xD3D84020, 0x18000103
	;; [unrolled: 1-line block ×3, first 2 shown]
.long 0xBF800001
.long 0xE074D000, 0x80030E06
.long 0xE074D000, 0x80031410
	;; [unrolled: 1-line block ×4, first 2 shown]
.long 0xBF800000
.long 0x92421415
	;; [unrolled: 1-line block ×16, first 2 shown]
.long 0xC2330CCC, 0x00000000
.long 0x965F811C
.long 0x925E811C
	;; [unrolled: 1-line block ×15, first 2 shown]
.long 0x7E4402FF, 0x80000000
.long 0xBEE00016
.long 0xBEE10017
	;; [unrolled: 1-line block ×7, first 2 shown]
.long 0xE054D000, 0x80180E06
.long 0xBE850032
.long 0x81858105
	;; [unrolled: 1-line block ×6, first 2 shown]
.long 0xE054D000, 0x80188006
.long 0x81858105
.long 0x80605A60
.long 0x82615B61
.long 0xBF008005
.long 0xBF850276
.long 0xE054D000, 0x80188806
.long 0x81858105
.long 0x80605A60
.long 0x82615B61
.long 0xBF008005
.long 0xBF850268
	;; [unrolled: 6-line block ×14, first 2 shown]
.long 0xE054D000, 0x8018F006
.long 0xBF8C0F7E
.long 0xD3B2400E, 0x1803010E
.long 0x81858105
.long 0xBF05CE05
.long 0xBF850217
.long 0x80605A60
.long 0x82615B61
.long 0xD0C6005C, 0x00000A80
.long 0xD1000023, 0x01724506
.long 0xE054D000, 0x80188023
.long 0xBF8C0F7E
.long 0xD3B2400E, 0x1803110E
.long 0x81858105
.long 0xBF05CE05
.long 0xBF850209
.long 0x80605A60
.long 0x82615B61
.long 0xD0C6005C, 0x00000A80
.long 0xD1000023, 0x01724506
	;; [unrolled: 10-line block ×15, first 2 shown]
.long 0xE054D000, 0x8018F023
.long 0xBF02CE05
.long 0xBF85FF2C
	;; [unrolled: 1-line block ×3, first 2 shown]
.long 0xD3B2400E, 0x1803010E
.long 0xBF8C0F7C
.long 0xD3B2400E, 0x1803110E
.long 0xBF8C0F7B
	;; [unrolled: 2-line block ×14, first 2 shown]
.long 0xBF8C0F7C
.long 0xD3B2400E, 0x1803010E
.long 0xBF8C0F7B
.long 0xD3B2400E, 0x1803110E
	;; [unrolled: 2-line block ×13, first 2 shown]
.long 0xBF8200F6
.long 0xBF8C0F7B
.long 0xD3B2400E, 0x1803010E
.long 0xBF8C0F7A
.long 0xD3B2400E, 0x1803110E
	;; [unrolled: 2-line block ×12, first 2 shown]
.long 0xBF8200D1
.long 0xBF8C0F7A
.long 0xD3B2400E, 0x1803010E
.long 0xBF8C0F79
.long 0xD3B2400E, 0x1803110E
	;; [unrolled: 2-line block ×11, first 2 shown]
.long 0xBF8200AF
.long 0xBF8C0F79
.long 0xD3B2400E, 0x1803010E
.long 0xBF8C0F78
.long 0xD3B2400E, 0x1803110E
	;; [unrolled: 2-line block ×10, first 2 shown]
.long 0xBF820090
.long 0xBF8C0F78
.long 0xD3B2400E, 0x1803010E
.long 0xBF8C0F77
.long 0xD3B2400E, 0x1803110E
	;; [unrolled: 2-line block ×9, first 2 shown]
.long 0xBF820074
.long 0xBF8C0F77
.long 0xD3B2400E, 0x1803010E
.long 0xBF8C0F76
.long 0xD3B2400E, 0x1803110E
	;; [unrolled: 2-line block ×8, first 2 shown]
.long 0xBF82005B
.long 0xBF8C0F76
.long 0xD3B2400E, 0x1803010E
.long 0xBF8C0F75
.long 0xD3B2400E, 0x1803110E
	;; [unrolled: 2-line block ×7, first 2 shown]
.long 0xBF820045
.long 0xBF8C0F75
.long 0xD3B2400E, 0x1803010E
.long 0xBF8C0F74
.long 0xD3B2400E, 0x1803110E
	;; [unrolled: 2-line block ×6, first 2 shown]
.long 0xBF820032
.long 0xBF8C0F74
.long 0xD3B2400E, 0x1803010E
.long 0xBF8C0F73
.long 0xD3B2400E, 0x1803110E
	;; [unrolled: 2-line block ×5, first 2 shown]
.long 0xBF820022
.long 0xBF8C0F73
.long 0xD3B2400E, 0x1803010E
.long 0xBF8C0F72
.long 0xD3B2400E, 0x1803110E
	;; [unrolled: 2-line block ×4, first 2 shown]
.long 0xBF820015
.long 0xBF8C0F72
.long 0xD3B2400E, 0x1803010E
.long 0xBF8C0F71
.long 0xD3B2400E, 0x1803110E
.long 0xBF8C0F70
.long 0xD3B2400E, 0x1803210E
.long 0xBF82000B
.long 0xBF8C0F71
.long 0xD3B2400E, 0x1803010E
.long 0xBF8C0F70
.long 0xD3B2400E, 0x1803110E
.long 0xBF820004
.long 0xBF8C0F70
.long 0xD3B2400E, 0x1803010E
.long 0xBF820000
.long 0x7E4402FF, 0x80000000
.long 0xBEE00016
.long 0xBEE10017
	;; [unrolled: 1-line block ×4, first 2 shown]
.long 0xE054D000, 0x80181410
.long 0xBE850032
.long 0x81858105
	;; [unrolled: 1-line block ×6, first 2 shown]
.long 0xE054D000, 0x80188010
.long 0x81858105
.long 0x80605A60
.long 0x82615B61
.long 0xBF008005
.long 0xBF850276
.long 0xE054D000, 0x80188810
.long 0x81858105
.long 0x80605A60
.long 0x82615B61
.long 0xBF008005
.long 0xBF850268
	;; [unrolled: 6-line block ×14, first 2 shown]
.long 0xE054D000, 0x8018F010
.long 0xBF8C0F7E
.long 0xD3B24014, 0x18030114
.long 0x81858105
.long 0xBF05CE05
.long 0xBF850217
.long 0x80605A60
.long 0x82615B61
.long 0xD0C6005C, 0x00000A80
.long 0xD1000023, 0x01724510
.long 0xE054D000, 0x80188023
.long 0xBF8C0F7E
.long 0xD3B24014, 0x18031114
.long 0x81858105
.long 0xBF05CE05
.long 0xBF850209
.long 0x80605A60
.long 0x82615B61
.long 0xD0C6005C, 0x00000A80
.long 0xD1000023, 0x01724510
	;; [unrolled: 10-line block ×15, first 2 shown]
.long 0xE054D000, 0x8018F023
.long 0xBF02CE05
.long 0xBF85FF2C
	;; [unrolled: 1-line block ×3, first 2 shown]
.long 0xD3B24014, 0x18030114
.long 0xBF8C0F7C
.long 0xD3B24014, 0x18031114
.long 0xBF8C0F7B
	;; [unrolled: 2-line block ×14, first 2 shown]
.long 0xBF8C0F7C
.long 0xD3B24014, 0x18030114
.long 0xBF8C0F7B
.long 0xD3B24014, 0x18031114
	;; [unrolled: 2-line block ×13, first 2 shown]
.long 0xBF8200F6
.long 0xBF8C0F7B
.long 0xD3B24014, 0x18030114
.long 0xBF8C0F7A
.long 0xD3B24014, 0x18031114
	;; [unrolled: 2-line block ×12, first 2 shown]
.long 0xBF8200D1
.long 0xBF8C0F7A
.long 0xD3B24014, 0x18030114
.long 0xBF8C0F79
.long 0xD3B24014, 0x18031114
	;; [unrolled: 2-line block ×11, first 2 shown]
.long 0xBF8200AF
.long 0xBF8C0F79
.long 0xD3B24014, 0x18030114
.long 0xBF8C0F78
.long 0xD3B24014, 0x18031114
	;; [unrolled: 2-line block ×10, first 2 shown]
.long 0xBF820090
.long 0xBF8C0F78
.long 0xD3B24014, 0x18030114
.long 0xBF8C0F77
.long 0xD3B24014, 0x18031114
	;; [unrolled: 2-line block ×9, first 2 shown]
.long 0xBF820074
.long 0xBF8C0F77
.long 0xD3B24014, 0x18030114
.long 0xBF8C0F76
.long 0xD3B24014, 0x18031114
	;; [unrolled: 2-line block ×8, first 2 shown]
.long 0xBF82005B
.long 0xBF8C0F76
.long 0xD3B24014, 0x18030114
.long 0xBF8C0F75
.long 0xD3B24014, 0x18031114
	;; [unrolled: 2-line block ×7, first 2 shown]
.long 0xBF820045
.long 0xBF8C0F75
.long 0xD3B24014, 0x18030114
.long 0xBF8C0F74
.long 0xD3B24014, 0x18031114
	;; [unrolled: 2-line block ×6, first 2 shown]
.long 0xBF820032
.long 0xBF8C0F74
.long 0xD3B24014, 0x18030114
.long 0xBF8C0F73
.long 0xD3B24014, 0x18031114
	;; [unrolled: 2-line block ×5, first 2 shown]
.long 0xBF820022
.long 0xBF8C0F73
.long 0xD3B24014, 0x18030114
.long 0xBF8C0F72
.long 0xD3B24014, 0x18031114
	;; [unrolled: 2-line block ×4, first 2 shown]
.long 0xBF820015
.long 0xBF8C0F72
.long 0xD3B24014, 0x18030114
.long 0xBF8C0F71
.long 0xD3B24014, 0x18031114
	;; [unrolled: 2-line block ×3, first 2 shown]
.long 0xBF82000B
.long 0xBF8C0F71
.long 0xD3B24014, 0x18030114
.long 0xBF8C0F70
.long 0xD3B24014, 0x18031114
.long 0xBF820004
.long 0xBF8C0F70
.long 0xD3B24014, 0x18030114
.long 0xBF820000
.long 0x7E4402FF, 0x80000000
.long 0xBEE00016
.long 0xBEE10017
	;; [unrolled: 1-line block ×4, first 2 shown]
.long 0xE054D000, 0x80181A16
.long 0xBE850032
.long 0x81858105
	;; [unrolled: 1-line block ×6, first 2 shown]
.long 0xE054D000, 0x80188016
.long 0x81858105
.long 0x80605A60
.long 0x82615B61
.long 0xBF008005
.long 0xBF850276
.long 0xE054D000, 0x80188816
.long 0x81858105
.long 0x80605A60
.long 0x82615B61
.long 0xBF008005
.long 0xBF850268
	;; [unrolled: 6-line block ×14, first 2 shown]
.long 0xE054D000, 0x8018F016
.long 0xBF8C0F7E
.long 0xD3B2401A, 0x1803011A
.long 0x81858105
.long 0xBF05CE05
.long 0xBF850217
.long 0x80605A60
.long 0x82615B61
.long 0xD0C6005C, 0x00000A80
.long 0xD1000023, 0x01724516
.long 0xE054D000, 0x80188023
.long 0xBF8C0F7E
.long 0xD3B2401A, 0x1803111A
.long 0x81858105
.long 0xBF05CE05
.long 0xBF850209
.long 0x80605A60
.long 0x82615B61
.long 0xD0C6005C, 0x00000A80
.long 0xD1000023, 0x01724516
	;; [unrolled: 10-line block ×15, first 2 shown]
.long 0xE054D000, 0x8018F023
.long 0xBF02CE05
.long 0xBF85FF2C
	;; [unrolled: 1-line block ×3, first 2 shown]
.long 0xD3B2401A, 0x1803011A
.long 0xBF8C0F7C
.long 0xD3B2401A, 0x1803111A
.long 0xBF8C0F7B
	;; [unrolled: 2-line block ×14, first 2 shown]
.long 0xBF8C0F7C
.long 0xD3B2401A, 0x1803011A
.long 0xBF8C0F7B
.long 0xD3B2401A, 0x1803111A
	;; [unrolled: 2-line block ×13, first 2 shown]
.long 0xBF8200F6
.long 0xBF8C0F7B
.long 0xD3B2401A, 0x1803011A
.long 0xBF8C0F7A
.long 0xD3B2401A, 0x1803111A
	;; [unrolled: 2-line block ×12, first 2 shown]
.long 0xBF8200D1
.long 0xBF8C0F7A
.long 0xD3B2401A, 0x1803011A
.long 0xBF8C0F79
.long 0xD3B2401A, 0x1803111A
	;; [unrolled: 2-line block ×11, first 2 shown]
.long 0xBF8200AF
.long 0xBF8C0F79
.long 0xD3B2401A, 0x1803011A
.long 0xBF8C0F78
.long 0xD3B2401A, 0x1803111A
.long 0xBF8C0F77
.long 0xD3B2401A, 0x1803211A
.long 0xBF8C0F76
.long 0xD3B2401A, 0x1803311A
.long 0xBF8C0F75
.long 0xD3B2401A, 0x1803411A
.long 0xBF8C0F74
.long 0xD3B2401A, 0x1803511A
.long 0xBF8C0F73
.long 0xD3B2401A, 0x1803611A
.long 0xBF8C0F72
.long 0xD3B2401A, 0x1803711A
.long 0xBF8C0F71
.long 0xD3B2401A, 0x1803811A
.long 0xBF8C0F70
.long 0xD3B2401A, 0x1803911A
.long 0xBF820090
.long 0xBF8C0F78
.long 0xD3B2401A, 0x1803011A
.long 0xBF8C0F77
.long 0xD3B2401A, 0x1803111A
.long 0xBF8C0F76
.long 0xD3B2401A, 0x1803211A
.long 0xBF8C0F75
.long 0xD3B2401A, 0x1803311A
.long 0xBF8C0F74
.long 0xD3B2401A, 0x1803411A
.long 0xBF8C0F73
.long 0xD3B2401A, 0x1803511A
.long 0xBF8C0F72
.long 0xD3B2401A, 0x1803611A
.long 0xBF8C0F71
.long 0xD3B2401A, 0x1803711A
.long 0xBF8C0F70
.long 0xD3B2401A, 0x1803811A
.long 0xBF820074
.long 0xBF8C0F77
.long 0xD3B2401A, 0x1803011A
.long 0xBF8C0F76
.long 0xD3B2401A, 0x1803111A
	;; [unrolled: 2-line block ×8, first 2 shown]
.long 0xBF82005B
.long 0xBF8C0F76
.long 0xD3B2401A, 0x1803011A
.long 0xBF8C0F75
.long 0xD3B2401A, 0x1803111A
	;; [unrolled: 2-line block ×7, first 2 shown]
.long 0xBF820045
.long 0xBF8C0F75
.long 0xD3B2401A, 0x1803011A
.long 0xBF8C0F74
.long 0xD3B2401A, 0x1803111A
	;; [unrolled: 2-line block ×6, first 2 shown]
.long 0xBF820032
.long 0xBF8C0F74
.long 0xD3B2401A, 0x1803011A
.long 0xBF8C0F73
.long 0xD3B2401A, 0x1803111A
	;; [unrolled: 2-line block ×5, first 2 shown]
.long 0xBF820022
.long 0xBF8C0F73
.long 0xD3B2401A, 0x1803011A
.long 0xBF8C0F72
.long 0xD3B2401A, 0x1803111A
.long 0xBF8C0F71
.long 0xD3B2401A, 0x1803211A
.long 0xBF8C0F70
.long 0xD3B2401A, 0x1803311A
.long 0xBF820015
.long 0xBF8C0F72
.long 0xD3B2401A, 0x1803011A
.long 0xBF8C0F71
.long 0xD3B2401A, 0x1803111A
	;; [unrolled: 2-line block ×3, first 2 shown]
.long 0xBF82000B
.long 0xBF8C0F71
.long 0xD3B2401A, 0x1803011A
.long 0xBF8C0F70
.long 0xD3B2401A, 0x1803111A
.long 0xBF820004
.long 0xBF8C0F70
.long 0xD3B2401A, 0x1803011A
.long 0xBF820000
.long 0x7E4402FF, 0x80000000
.long 0xBEE00016
.long 0xBEE10017
	;; [unrolled: 1-line block ×4, first 2 shown]
.long 0xE054D000, 0x8018201C
.long 0xBE850032
.long 0x81858105
	;; [unrolled: 1-line block ×6, first 2 shown]
.long 0xE054D000, 0x8018801C
.long 0x81858105
.long 0x80605A60
.long 0x82615B61
.long 0xBF008005
.long 0xBF850276
.long 0xE054D000, 0x8018881C
.long 0x81858105
.long 0x80605A60
.long 0x82615B61
.long 0xBF008005
.long 0xBF850268
.long 0xE054D000, 0x8018901C
.long 0x81858105
.long 0x80605A60
.long 0x82615B61
.long 0xBF008005
.long 0xBF850257
.long 0xE054D000, 0x8018981C
.long 0x81858105
.long 0x80605A60
.long 0x82615B61
.long 0xBF008005
.long 0xBF850243
.long 0xE054D000, 0x8018A01C
.long 0x81858105
.long 0x80605A60
.long 0x82615B61
.long 0xBF008005
.long 0xBF85022C
.long 0xE054D000, 0x8018A81C
.long 0x81858105
.long 0x80605A60
.long 0x82615B61
.long 0xBF008005
.long 0xBF850212
.long 0xE054D000, 0x8018B01C
.long 0x81858105
.long 0x80605A60
.long 0x82615B61
.long 0xBF008005
.long 0xBF8501F5
.long 0xE054D000, 0x8018B81C
.long 0x81858105
.long 0x80605A60
.long 0x82615B61
.long 0xBF008005
.long 0xBF8501D5
.long 0xE054D000, 0x8018C01C
.long 0x81858105
.long 0x80605A60
.long 0x82615B61
.long 0xBF008005
.long 0xBF8501B2
.long 0xE054D000, 0x8018C81C
.long 0x81858105
.long 0x80605A60
.long 0x82615B61
.long 0xBF008005
.long 0xBF85018C
.long 0xE054D000, 0x8018D01C
.long 0x81858105
.long 0x80605A60
.long 0x82615B61
.long 0xBF008005
.long 0xBF850163
.long 0xE054D000, 0x8018D81C
.long 0x81858105
.long 0x80605A60
.long 0x82615B61
.long 0xBF008005
.long 0xBF850137
.long 0xE054D000, 0x8018E01C
.long 0x81858105
.long 0x80605A60
.long 0x82615B61
.long 0xBF008005
.long 0xBF850108
.long 0xE054D000, 0x8018E81C
.long 0x81858105
.long 0x80605A60
.long 0x82615B61
.long 0xBF008005
.long 0xBF8500D6
.long 0xE054D000, 0x8018F01C
.long 0xBF8C0F7E
.long 0xD3B24020, 0x18030120
.long 0x81858105
.long 0xBF05CE05
.long 0xBF850217
.long 0x80605A60
.long 0x82615B61
.long 0xD0C6005C, 0x00000A80
.long 0xD1000023, 0x0172451C
.long 0xE054D000, 0x80188023
.long 0xBF8C0F7E
.long 0xD3B24020, 0x18031120
.long 0x81858105
.long 0xBF05CE05
.long 0xBF850209
.long 0x80605A60
.long 0x82615B61
.long 0xD0C6005C, 0x00000A80
.long 0xD1000023, 0x0172451C
	;; [unrolled: 10-line block ×15, first 2 shown]
.long 0xE054D000, 0x8018F023
.long 0xBF02CE05
.long 0xBF85FF2C
	;; [unrolled: 1-line block ×3, first 2 shown]
.long 0xD3B24020, 0x18030120
.long 0xBF8C0F7C
.long 0xD3B24020, 0x18031120
.long 0xBF8C0F7B
.long 0xD3B24020, 0x18032120
.long 0xBF8C0F7A
.long 0xD3B24020, 0x18033120
.long 0xBF8C0F79
.long 0xD3B24020, 0x18034120
.long 0xBF8C0F78
.long 0xD3B24020, 0x18035120
.long 0xBF8C0F77
.long 0xD3B24020, 0x18036120
.long 0xBF8C0F76
.long 0xD3B24020, 0x18037120
.long 0xBF8C0F75
.long 0xD3B24020, 0x18038120
.long 0xBF8C0F74
.long 0xD3B24020, 0x18039120
.long 0xBF8C0F73
.long 0xD3B24020, 0x1803A120
.long 0xBF8C0F72
.long 0xD3B24020, 0x1803B120
.long 0xBF8C0F71
.long 0xD3B24020, 0x1803C120
.long 0xBF8C0F70
.long 0xD3B24020, 0x1803D120
.long 0xBF82011E
.long 0xBF8C0F7C
.long 0xD3B24020, 0x18030120
.long 0xBF8C0F7B
.long 0xD3B24020, 0x18031120
	;; [unrolled: 2-line block ×13, first 2 shown]
.long 0xBF8200F6
.long 0xBF8C0F7B
.long 0xD3B24020, 0x18030120
.long 0xBF8C0F7A
.long 0xD3B24020, 0x18031120
	;; [unrolled: 2-line block ×12, first 2 shown]
.long 0xBF8200D1
.long 0xBF8C0F7A
.long 0xD3B24020, 0x18030120
.long 0xBF8C0F79
.long 0xD3B24020, 0x18031120
	;; [unrolled: 2-line block ×11, first 2 shown]
.long 0xBF8200AF
.long 0xBF8C0F79
.long 0xD3B24020, 0x18030120
.long 0xBF8C0F78
.long 0xD3B24020, 0x18031120
	;; [unrolled: 2-line block ×10, first 2 shown]
.long 0xBF820090
.long 0xBF8C0F78
.long 0xD3B24020, 0x18030120
.long 0xBF8C0F77
.long 0xD3B24020, 0x18031120
	;; [unrolled: 2-line block ×9, first 2 shown]
.long 0xBF820074
.long 0xBF8C0F77
.long 0xD3B24020, 0x18030120
.long 0xBF8C0F76
.long 0xD3B24020, 0x18031120
	;; [unrolled: 2-line block ×8, first 2 shown]
.long 0xBF82005B
.long 0xBF8C0F76
.long 0xD3B24020, 0x18030120
.long 0xBF8C0F75
.long 0xD3B24020, 0x18031120
	;; [unrolled: 2-line block ×7, first 2 shown]
.long 0xBF820045
.long 0xBF8C0F75
.long 0xD3B24020, 0x18030120
.long 0xBF8C0F74
.long 0xD3B24020, 0x18031120
	;; [unrolled: 2-line block ×6, first 2 shown]
.long 0xBF820032
.long 0xBF8C0F74
.long 0xD3B24020, 0x18030120
.long 0xBF8C0F73
.long 0xD3B24020, 0x18031120
	;; [unrolled: 2-line block ×5, first 2 shown]
.long 0xBF820022
.long 0xBF8C0F73
.long 0xD3B24020, 0x18030120
.long 0xBF8C0F72
.long 0xD3B24020, 0x18031120
	;; [unrolled: 2-line block ×4, first 2 shown]
.long 0xBF820015
.long 0xBF8C0F72
.long 0xD3B24020, 0x18030120
.long 0xBF8C0F71
.long 0xD3B24020, 0x18031120
	;; [unrolled: 2-line block ×3, first 2 shown]
.long 0xBF82000B
.long 0xBF8C0F71
.long 0xD3B24020, 0x18030120
.long 0xBF8C0F70
.long 0xD3B24020, 0x18031120
.long 0xBF820004
.long 0xBF8C0F70
.long 0xD3B24020, 0x18030120
.long 0xBF820000
.long 0x0A1C1C30
	;; [unrolled: 1-line block ×10, first 2 shown]
.long 0xD0CC0038, 0x0001004A
.long 0xD100000C, 0x00E218F2
.long 0xD100000D, 0x00E21AF2
.long 0xD3B1400E, 0x18021D0C
.long 0xD3B2400E, 0x18021D0A
.long 0x0A1C1CFF, 0xBFB8AA3B
.long 0x7E1C410E
.long 0xBF800000
.long 0x021C1CF2
.long 0x7E1C450E
.long 0xBF800000
.long 0x0A1E1EFF, 0xBFB8AA3B
.long 0x7E1E410F
.long 0xBF800000
.long 0x021E1EF2
.long 0x7E1E450F
.long 0xBF800000
.long 0x7E1C150E
.long 0x7E1E150F
.long 0xD2A0000E, 0x00021F0E
.long 0xE070D000, 0x80140E07
.long 0xBF800000
.long 0xD0CC0038, 0x0001004A
.long 0xD100000C, 0x00E218F2
.long 0xD100000D, 0x00E21AF2
.long 0xD3B14014, 0x1802290C
.long 0xD3B24014, 0x1802290A
.long 0x0A2828FF, 0xBFB8AA3B
.long 0x7E284114
.long 0xBF800000
.long 0x022828F2
.long 0x7E284514
.long 0xBF800000
.long 0x0A2A2AFF, 0xBFB8AA3B
.long 0x7E2A4115
.long 0xBF800000
.long 0x022A2AF2
.long 0x7E2A4515
.long 0xBF800000
.long 0x7E281514
.long 0x7E2A1515
.long 0xD2A00014, 0x00022B14
.long 0xE070D000, 0x80141411
.long 0xBF800000
	;; [unrolled: 22-line block ×4, first 2 shown]
.long 0xBF800000
.long 0xBF82174B
.long 0x7E4402FF, 0x80000000
.long 0xD0C90054, 0x00003900
	;; [unrolled: 1-line block ×3, first 2 shown]
.long 0x86D85854
.long 0x925402FF, 0x00000080
.long 0xD1350008, 0x0000A900
.long 0x24101082
.long 0xD1000008, 0x01621122
.long 0xBF8CC07F
.long 0xBF8A0000
.long 0xD8EC0000, 0x0A000008
.long 0x24120082
.long 0xE0541000, 0x80120C09
.long 0xD1FE0006, 0x020A0103
	;; [unrolled: 1-line block ×10, first 2 shown]
.long 0x86D85854
.long 0x925402FF, 0x00000080
.long 0xD1350012, 0x0000A900
.long 0x24242482
.long 0xD1000012, 0x01622522
.long 0x24260082
.long 0xD1FE0010, 0x020A0103
.long 0xD1000010, 0x01622122
.long 0xD1FE0011, 0x02060103
.long 0xD1000011, 0x01622322
.long 0xD1196A01, 0x00010301
.long 0xD1340002, 0x00005502
.long 0xD1340003, 0x00005103
.long 0xD0C90054, 0x00003900
.long 0xD0C90058, 0x00003B01
.long 0x86D85854
.long 0x925402FF, 0x00000080
.long 0xD1350018, 0x0000A900
.long 0x24303082
.long 0xD1000018, 0x01623122
.long 0x24320082
.long 0xD1FE0016, 0x020A0103
.long 0xD1000016, 0x01622D22
.long 0xD1FE0017, 0x02060103
.long 0xD1000017, 0x01622F22
.long 0xD1196A01, 0x00010301
.long 0xD1340002, 0x00005502
.long 0xD1340003, 0x00005103
.long 0xD0C90054, 0x00003900
.long 0xD0C90058, 0x00003B01
	;; [unrolled: 15-line block ×3, first 2 shown]
.long 0xD3D8401B, 0x18000106
.long 0xD3D84020, 0x18000103
	;; [unrolled: 1-line block ×3, first 2 shown]
.long 0xBF800001
.long 0xE074D000, 0x80030E06
.long 0xE074D000, 0x80031410
	;; [unrolled: 1-line block ×4, first 2 shown]
.long 0xBF800000
.long 0x92421415
	;; [unrolled: 1-line block ×16, first 2 shown]
.long 0xC2330CCC, 0x00000000
.long 0x965F811C
.long 0x925E811C
	;; [unrolled: 1-line block ×15, first 2 shown]
.long 0x7E4402FF, 0x80000000
.long 0xBEE00016
.long 0xBEE10017
	;; [unrolled: 1-line block ×7, first 2 shown]
.long 0xE054D000, 0x80180E06
.long 0xBE850032
.long 0x81858105
	;; [unrolled: 1-line block ×6, first 2 shown]
.long 0xE054D000, 0x80188006
.long 0x81858105
.long 0x80605A60
.long 0x82615B61
.long 0xBF008005
.long 0xBF850276
.long 0xE054D000, 0x80188806
.long 0x81858105
.long 0x80605A60
.long 0x82615B61
.long 0xBF008005
.long 0xBF850268
.long 0xE054D000, 0x80189006
.long 0x81858105
.long 0x80605A60
.long 0x82615B61
.long 0xBF008005
.long 0xBF850257
.long 0xE054D000, 0x80189806
.long 0x81858105
.long 0x80605A60
.long 0x82615B61
.long 0xBF008005
.long 0xBF850243
.long 0xE054D000, 0x8018A006
.long 0x81858105
.long 0x80605A60
.long 0x82615B61
.long 0xBF008005
.long 0xBF85022C
.long 0xE054D000, 0x8018A806
.long 0x81858105
.long 0x80605A60
.long 0x82615B61
.long 0xBF008005
.long 0xBF850212
.long 0xE054D000, 0x8018B006
.long 0x81858105
.long 0x80605A60
.long 0x82615B61
.long 0xBF008005
.long 0xBF8501F5
.long 0xE054D000, 0x8018B806
.long 0x81858105
.long 0x80605A60
.long 0x82615B61
.long 0xBF008005
.long 0xBF8501D5
.long 0xE054D000, 0x8018C006
.long 0x81858105
.long 0x80605A60
.long 0x82615B61
.long 0xBF008005
.long 0xBF8501B2
.long 0xE054D000, 0x8018C806
.long 0x81858105
.long 0x80605A60
.long 0x82615B61
.long 0xBF008005
.long 0xBF85018C
.long 0xE054D000, 0x8018D006
.long 0x81858105
.long 0x80605A60
.long 0x82615B61
.long 0xBF008005
.long 0xBF850163
.long 0xE054D000, 0x8018D806
.long 0x81858105
.long 0x80605A60
.long 0x82615B61
.long 0xBF008005
.long 0xBF850137
.long 0xE054D000, 0x8018E006
.long 0x81858105
.long 0x80605A60
.long 0x82615B61
.long 0xBF008005
.long 0xBF850108
.long 0xE054D000, 0x8018E806
.long 0x81858105
.long 0x80605A60
.long 0x82615B61
.long 0xBF008005
.long 0xBF8500D6
.long 0xE054D000, 0x8018F006
.long 0xBF8C0F7E
.long 0xD3B2400E, 0x1803010E
.long 0x81858105
.long 0xBF05CE05
.long 0xBF850217
.long 0x80605A60
.long 0x82615B61
.long 0xD0C6005C, 0x00000A80
.long 0xD1000023, 0x01724506
.long 0xE054D000, 0x80188023
.long 0xBF8C0F7E
.long 0xD3B2400E, 0x1803110E
.long 0x81858105
.long 0xBF05CE05
.long 0xBF850209
.long 0x80605A60
.long 0x82615B61
.long 0xD0C6005C, 0x00000A80
.long 0xD1000023, 0x01724506
	;; [unrolled: 10-line block ×15, first 2 shown]
.long 0xE054D000, 0x8018F023
.long 0xBF02CE05
.long 0xBF85FF2C
	;; [unrolled: 1-line block ×3, first 2 shown]
.long 0xD3B2400E, 0x1803010E
.long 0xBF8C0F7C
.long 0xD3B2400E, 0x1803110E
.long 0xBF8C0F7B
	;; [unrolled: 2-line block ×14, first 2 shown]
.long 0xBF8C0F7C
.long 0xD3B2400E, 0x1803010E
.long 0xBF8C0F7B
.long 0xD3B2400E, 0x1803110E
	;; [unrolled: 2-line block ×13, first 2 shown]
.long 0xBF8200F6
.long 0xBF8C0F7B
.long 0xD3B2400E, 0x1803010E
.long 0xBF8C0F7A
.long 0xD3B2400E, 0x1803110E
	;; [unrolled: 2-line block ×12, first 2 shown]
.long 0xBF8200D1
.long 0xBF8C0F7A
.long 0xD3B2400E, 0x1803010E
.long 0xBF8C0F79
.long 0xD3B2400E, 0x1803110E
	;; [unrolled: 2-line block ×11, first 2 shown]
.long 0xBF8200AF
.long 0xBF8C0F79
.long 0xD3B2400E, 0x1803010E
.long 0xBF8C0F78
.long 0xD3B2400E, 0x1803110E
	;; [unrolled: 2-line block ×10, first 2 shown]
.long 0xBF820090
.long 0xBF8C0F78
.long 0xD3B2400E, 0x1803010E
.long 0xBF8C0F77
.long 0xD3B2400E, 0x1803110E
.long 0xBF8C0F76
.long 0xD3B2400E, 0x1803210E
.long 0xBF8C0F75
.long 0xD3B2400E, 0x1803310E
.long 0xBF8C0F74
.long 0xD3B2400E, 0x1803410E
.long 0xBF8C0F73
.long 0xD3B2400E, 0x1803510E
.long 0xBF8C0F72
.long 0xD3B2400E, 0x1803610E
.long 0xBF8C0F71
.long 0xD3B2400E, 0x1803710E
.long 0xBF8C0F70
.long 0xD3B2400E, 0x1803810E
.long 0xBF820074
.long 0xBF8C0F77
.long 0xD3B2400E, 0x1803010E
.long 0xBF8C0F76
.long 0xD3B2400E, 0x1803110E
	;; [unrolled: 2-line block ×8, first 2 shown]
.long 0xBF82005B
.long 0xBF8C0F76
.long 0xD3B2400E, 0x1803010E
.long 0xBF8C0F75
.long 0xD3B2400E, 0x1803110E
	;; [unrolled: 2-line block ×7, first 2 shown]
.long 0xBF820045
.long 0xBF8C0F75
.long 0xD3B2400E, 0x1803010E
.long 0xBF8C0F74
.long 0xD3B2400E, 0x1803110E
	;; [unrolled: 2-line block ×6, first 2 shown]
.long 0xBF820032
.long 0xBF8C0F74
.long 0xD3B2400E, 0x1803010E
.long 0xBF8C0F73
.long 0xD3B2400E, 0x1803110E
	;; [unrolled: 2-line block ×5, first 2 shown]
.long 0xBF820022
.long 0xBF8C0F73
.long 0xD3B2400E, 0x1803010E
.long 0xBF8C0F72
.long 0xD3B2400E, 0x1803110E
	;; [unrolled: 2-line block ×4, first 2 shown]
.long 0xBF820015
.long 0xBF8C0F72
.long 0xD3B2400E, 0x1803010E
.long 0xBF8C0F71
.long 0xD3B2400E, 0x1803110E
	;; [unrolled: 2-line block ×3, first 2 shown]
.long 0xBF82000B
.long 0xBF8C0F71
.long 0xD3B2400E, 0x1803010E
.long 0xBF8C0F70
.long 0xD3B2400E, 0x1803110E
.long 0xBF820004
.long 0xBF8C0F70
.long 0xD3B2400E, 0x1803010E
.long 0xBF820000
.long 0x7E4402FF, 0x80000000
.long 0xBEE00016
.long 0xBEE10017
	;; [unrolled: 1-line block ×4, first 2 shown]
.long 0xE054D000, 0x80181410
.long 0xBE850032
.long 0x81858105
.long 0x80605A60
.long 0x82615B61
.long 0xBF008005
.long 0xBF850281
.long 0xE054D000, 0x80188010
.long 0x81858105
.long 0x80605A60
.long 0x82615B61
.long 0xBF008005
.long 0xBF850276
.long 0xE054D000, 0x80188810
.long 0x81858105
.long 0x80605A60
.long 0x82615B61
.long 0xBF008005
.long 0xBF850268
	;; [unrolled: 6-line block ×14, first 2 shown]
.long 0xE054D000, 0x8018F010
.long 0xBF8C0F7E
.long 0xD3B24014, 0x18030114
.long 0x81858105
.long 0xBF05CE05
.long 0xBF850217
.long 0x80605A60
.long 0x82615B61
.long 0xD0C6005C, 0x00000A80
.long 0xD1000023, 0x01724510
.long 0xE054D000, 0x80188023
.long 0xBF8C0F7E
.long 0xD3B24014, 0x18031114
.long 0x81858105
.long 0xBF05CE05
.long 0xBF850209
.long 0x80605A60
.long 0x82615B61
.long 0xD0C6005C, 0x00000A80
.long 0xD1000023, 0x01724510
	;; [unrolled: 10-line block ×15, first 2 shown]
.long 0xE054D000, 0x8018F023
.long 0xBF02CE05
.long 0xBF85FF2C
	;; [unrolled: 1-line block ×3, first 2 shown]
.long 0xD3B24014, 0x18030114
.long 0xBF8C0F7C
.long 0xD3B24014, 0x18031114
.long 0xBF8C0F7B
	;; [unrolled: 2-line block ×14, first 2 shown]
.long 0xBF8C0F7C
.long 0xD3B24014, 0x18030114
.long 0xBF8C0F7B
.long 0xD3B24014, 0x18031114
	;; [unrolled: 2-line block ×13, first 2 shown]
.long 0xBF8200F6
.long 0xBF8C0F7B
.long 0xD3B24014, 0x18030114
.long 0xBF8C0F7A
.long 0xD3B24014, 0x18031114
	;; [unrolled: 2-line block ×12, first 2 shown]
.long 0xBF8200D1
.long 0xBF8C0F7A
.long 0xD3B24014, 0x18030114
.long 0xBF8C0F79
.long 0xD3B24014, 0x18031114
	;; [unrolled: 2-line block ×11, first 2 shown]
.long 0xBF8200AF
.long 0xBF8C0F79
.long 0xD3B24014, 0x18030114
.long 0xBF8C0F78
.long 0xD3B24014, 0x18031114
	;; [unrolled: 2-line block ×10, first 2 shown]
.long 0xBF820090
.long 0xBF8C0F78
.long 0xD3B24014, 0x18030114
.long 0xBF8C0F77
.long 0xD3B24014, 0x18031114
	;; [unrolled: 2-line block ×9, first 2 shown]
.long 0xBF820074
.long 0xBF8C0F77
.long 0xD3B24014, 0x18030114
.long 0xBF8C0F76
.long 0xD3B24014, 0x18031114
	;; [unrolled: 2-line block ×8, first 2 shown]
.long 0xBF82005B
.long 0xBF8C0F76
.long 0xD3B24014, 0x18030114
.long 0xBF8C0F75
.long 0xD3B24014, 0x18031114
	;; [unrolled: 2-line block ×7, first 2 shown]
.long 0xBF820045
.long 0xBF8C0F75
.long 0xD3B24014, 0x18030114
.long 0xBF8C0F74
.long 0xD3B24014, 0x18031114
	;; [unrolled: 2-line block ×6, first 2 shown]
.long 0xBF820032
.long 0xBF8C0F74
.long 0xD3B24014, 0x18030114
.long 0xBF8C0F73
.long 0xD3B24014, 0x18031114
.long 0xBF8C0F72
.long 0xD3B24014, 0x18032114
.long 0xBF8C0F71
.long 0xD3B24014, 0x18033114
.long 0xBF8C0F70
.long 0xD3B24014, 0x18034114
.long 0xBF820022
.long 0xBF8C0F73
.long 0xD3B24014, 0x18030114
.long 0xBF8C0F72
.long 0xD3B24014, 0x18031114
	;; [unrolled: 2-line block ×4, first 2 shown]
.long 0xBF820015
.long 0xBF8C0F72
.long 0xD3B24014, 0x18030114
.long 0xBF8C0F71
.long 0xD3B24014, 0x18031114
.long 0xBF8C0F70
.long 0xD3B24014, 0x18032114
.long 0xBF82000B
.long 0xBF8C0F71
.long 0xD3B24014, 0x18030114
.long 0xBF8C0F70
.long 0xD3B24014, 0x18031114
.long 0xBF820004
.long 0xBF8C0F70
.long 0xD3B24014, 0x18030114
.long 0xBF820000
.long 0x7E4402FF, 0x80000000
.long 0xBEE00016
.long 0xBEE10017
	;; [unrolled: 1-line block ×4, first 2 shown]
.long 0xE054D000, 0x80181A16
.long 0xBE850032
.long 0x81858105
	;; [unrolled: 1-line block ×6, first 2 shown]
.long 0xE054D000, 0x80188016
.long 0x81858105
.long 0x80605A60
.long 0x82615B61
.long 0xBF008005
.long 0xBF850276
.long 0xE054D000, 0x80188816
.long 0x81858105
.long 0x80605A60
.long 0x82615B61
.long 0xBF008005
.long 0xBF850268
	;; [unrolled: 6-line block ×14, first 2 shown]
.long 0xE054D000, 0x8018F016
.long 0xBF8C0F7E
.long 0xD3B2401A, 0x1803011A
.long 0x81858105
.long 0xBF05CE05
.long 0xBF850217
.long 0x80605A60
.long 0x82615B61
.long 0xD0C6005C, 0x00000A80
.long 0xD1000023, 0x01724516
.long 0xE054D000, 0x80188023
.long 0xBF8C0F7E
.long 0xD3B2401A, 0x1803111A
.long 0x81858105
.long 0xBF05CE05
.long 0xBF850209
.long 0x80605A60
.long 0x82615B61
.long 0xD0C6005C, 0x00000A80
.long 0xD1000023, 0x01724516
	;; [unrolled: 10-line block ×15, first 2 shown]
.long 0xE054D000, 0x8018F023
.long 0xBF02CE05
.long 0xBF85FF2C
	;; [unrolled: 1-line block ×3, first 2 shown]
.long 0xD3B2401A, 0x1803011A
.long 0xBF8C0F7C
.long 0xD3B2401A, 0x1803111A
.long 0xBF8C0F7B
	;; [unrolled: 2-line block ×14, first 2 shown]
.long 0xBF8C0F7C
.long 0xD3B2401A, 0x1803011A
.long 0xBF8C0F7B
.long 0xD3B2401A, 0x1803111A
	;; [unrolled: 2-line block ×13, first 2 shown]
.long 0xBF8200F6
.long 0xBF8C0F7B
.long 0xD3B2401A, 0x1803011A
.long 0xBF8C0F7A
.long 0xD3B2401A, 0x1803111A
	;; [unrolled: 2-line block ×12, first 2 shown]
.long 0xBF8200D1
.long 0xBF8C0F7A
.long 0xD3B2401A, 0x1803011A
.long 0xBF8C0F79
.long 0xD3B2401A, 0x1803111A
	;; [unrolled: 2-line block ×11, first 2 shown]
.long 0xBF8200AF
.long 0xBF8C0F79
.long 0xD3B2401A, 0x1803011A
.long 0xBF8C0F78
.long 0xD3B2401A, 0x1803111A
	;; [unrolled: 2-line block ×10, first 2 shown]
.long 0xBF820090
.long 0xBF8C0F78
.long 0xD3B2401A, 0x1803011A
.long 0xBF8C0F77
.long 0xD3B2401A, 0x1803111A
	;; [unrolled: 2-line block ×9, first 2 shown]
.long 0xBF820074
.long 0xBF8C0F77
.long 0xD3B2401A, 0x1803011A
.long 0xBF8C0F76
.long 0xD3B2401A, 0x1803111A
	;; [unrolled: 2-line block ×8, first 2 shown]
.long 0xBF82005B
.long 0xBF8C0F76
.long 0xD3B2401A, 0x1803011A
.long 0xBF8C0F75
.long 0xD3B2401A, 0x1803111A
	;; [unrolled: 2-line block ×7, first 2 shown]
.long 0xBF820045
.long 0xBF8C0F75
.long 0xD3B2401A, 0x1803011A
.long 0xBF8C0F74
.long 0xD3B2401A, 0x1803111A
	;; [unrolled: 2-line block ×6, first 2 shown]
.long 0xBF820032
.long 0xBF8C0F74
.long 0xD3B2401A, 0x1803011A
.long 0xBF8C0F73
.long 0xD3B2401A, 0x1803111A
	;; [unrolled: 2-line block ×5, first 2 shown]
.long 0xBF820022
.long 0xBF8C0F73
.long 0xD3B2401A, 0x1803011A
.long 0xBF8C0F72
.long 0xD3B2401A, 0x1803111A
	;; [unrolled: 2-line block ×4, first 2 shown]
.long 0xBF820015
.long 0xBF8C0F72
.long 0xD3B2401A, 0x1803011A
.long 0xBF8C0F71
.long 0xD3B2401A, 0x1803111A
	;; [unrolled: 2-line block ×3, first 2 shown]
.long 0xBF82000B
.long 0xBF8C0F71
.long 0xD3B2401A, 0x1803011A
.long 0xBF8C0F70
.long 0xD3B2401A, 0x1803111A
.long 0xBF820004
.long 0xBF8C0F70
.long 0xD3B2401A, 0x1803011A
.long 0xBF820000
.long 0x7E4402FF, 0x80000000
.long 0xBEE00016
.long 0xBEE10017
.long 0xBEE2000E
.long 0xBEE3000F
.long 0xE054D000, 0x8018201C
.long 0xBE850032
.long 0x81858105
.long 0x80605A60
.long 0x82615B61
.long 0xBF008005
.long 0xBF850281
.long 0xE054D000, 0x8018801C
.long 0x81858105
.long 0x80605A60
.long 0x82615B61
.long 0xBF008005
.long 0xBF850276
.long 0xE054D000, 0x8018881C
.long 0x81858105
.long 0x80605A60
.long 0x82615B61
.long 0xBF008005
.long 0xBF850268
	;; [unrolled: 6-line block ×14, first 2 shown]
.long 0xE054D000, 0x8018F01C
.long 0xBF8C0F7E
.long 0xD3B24020, 0x18030120
.long 0x81858105
.long 0xBF05CE05
.long 0xBF850217
.long 0x80605A60
.long 0x82615B61
.long 0xD0C6005C, 0x00000A80
.long 0xD1000023, 0x0172451C
.long 0xE054D000, 0x80188023
.long 0xBF8C0F7E
.long 0xD3B24020, 0x18031120
.long 0x81858105
.long 0xBF05CE05
.long 0xBF850209
.long 0x80605A60
.long 0x82615B61
.long 0xD0C6005C, 0x00000A80
.long 0xD1000023, 0x0172451C
	;; [unrolled: 10-line block ×15, first 2 shown]
.long 0xE054D000, 0x8018F023
.long 0xBF02CE05
.long 0xBF85FF2C
.long 0xBF8C0F7D
.long 0xD3B24020, 0x18030120
.long 0xBF8C0F7C
.long 0xD3B24020, 0x18031120
.long 0xBF8C0F7B
.long 0xD3B24020, 0x18032120
.long 0xBF8C0F7A
.long 0xD3B24020, 0x18033120
.long 0xBF8C0F79
.long 0xD3B24020, 0x18034120
.long 0xBF8C0F78
.long 0xD3B24020, 0x18035120
.long 0xBF8C0F77
.long 0xD3B24020, 0x18036120
.long 0xBF8C0F76
.long 0xD3B24020, 0x18037120
.long 0xBF8C0F75
.long 0xD3B24020, 0x18038120
.long 0xBF8C0F74
.long 0xD3B24020, 0x18039120
.long 0xBF8C0F73
.long 0xD3B24020, 0x1803A120
.long 0xBF8C0F72
.long 0xD3B24020, 0x1803B120
.long 0xBF8C0F71
.long 0xD3B24020, 0x1803C120
.long 0xBF8C0F70
.long 0xD3B24020, 0x1803D120
.long 0xBF82011E
.long 0xBF8C0F7C
.long 0xD3B24020, 0x18030120
.long 0xBF8C0F7B
.long 0xD3B24020, 0x18031120
.long 0xBF8C0F7A
.long 0xD3B24020, 0x18032120
.long 0xBF8C0F79
.long 0xD3B24020, 0x18033120
.long 0xBF8C0F78
.long 0xD3B24020, 0x18034120
.long 0xBF8C0F77
.long 0xD3B24020, 0x18035120
.long 0xBF8C0F76
.long 0xD3B24020, 0x18036120
.long 0xBF8C0F75
.long 0xD3B24020, 0x18037120
.long 0xBF8C0F74
.long 0xD3B24020, 0x18038120
.long 0xBF8C0F73
.long 0xD3B24020, 0x18039120
.long 0xBF8C0F72
.long 0xD3B24020, 0x1803A120
.long 0xBF8C0F71
.long 0xD3B24020, 0x1803B120
.long 0xBF8C0F70
.long 0xD3B24020, 0x1803C120
.long 0xBF8200F6
.long 0xBF8C0F7B
.long 0xD3B24020, 0x18030120
.long 0xBF8C0F7A
.long 0xD3B24020, 0x18031120
	;; [unrolled: 2-line block ×12, first 2 shown]
.long 0xBF8200D1
.long 0xBF8C0F7A
.long 0xD3B24020, 0x18030120
.long 0xBF8C0F79
.long 0xD3B24020, 0x18031120
.long 0xBF8C0F78
.long 0xD3B24020, 0x18032120
.long 0xBF8C0F77
.long 0xD3B24020, 0x18033120
.long 0xBF8C0F76
.long 0xD3B24020, 0x18034120
.long 0xBF8C0F75
.long 0xD3B24020, 0x18035120
.long 0xBF8C0F74
.long 0xD3B24020, 0x18036120
.long 0xBF8C0F73
.long 0xD3B24020, 0x18037120
.long 0xBF8C0F72
.long 0xD3B24020, 0x18038120
.long 0xBF8C0F71
.long 0xD3B24020, 0x18039120
.long 0xBF8C0F70
.long 0xD3B24020, 0x1803A120
.long 0xBF8200AF
.long 0xBF8C0F79
.long 0xD3B24020, 0x18030120
.long 0xBF8C0F78
.long 0xD3B24020, 0x18031120
	;; [unrolled: 2-line block ×10, first 2 shown]
.long 0xBF820090
.long 0xBF8C0F78
.long 0xD3B24020, 0x18030120
.long 0xBF8C0F77
.long 0xD3B24020, 0x18031120
	;; [unrolled: 2-line block ×9, first 2 shown]
.long 0xBF820074
.long 0xBF8C0F77
.long 0xD3B24020, 0x18030120
.long 0xBF8C0F76
.long 0xD3B24020, 0x18031120
	;; [unrolled: 2-line block ×8, first 2 shown]
.long 0xBF82005B
.long 0xBF8C0F76
.long 0xD3B24020, 0x18030120
.long 0xBF8C0F75
.long 0xD3B24020, 0x18031120
	;; [unrolled: 2-line block ×7, first 2 shown]
.long 0xBF820045
.long 0xBF8C0F75
.long 0xD3B24020, 0x18030120
.long 0xBF8C0F74
.long 0xD3B24020, 0x18031120
	;; [unrolled: 2-line block ×6, first 2 shown]
.long 0xBF820032
.long 0xBF8C0F74
.long 0xD3B24020, 0x18030120
.long 0xBF8C0F73
.long 0xD3B24020, 0x18031120
	;; [unrolled: 2-line block ×5, first 2 shown]
.long 0xBF820022
.long 0xBF8C0F73
.long 0xD3B24020, 0x18030120
.long 0xBF8C0F72
.long 0xD3B24020, 0x18031120
	;; [unrolled: 2-line block ×4, first 2 shown]
.long 0xBF820015
.long 0xBF8C0F72
.long 0xD3B24020, 0x18030120
.long 0xBF8C0F71
.long 0xD3B24020, 0x18031120
	;; [unrolled: 2-line block ×3, first 2 shown]
.long 0xBF82000B
.long 0xBF8C0F71
.long 0xD3B24020, 0x18030120
.long 0xBF8C0F70
.long 0xD3B24020, 0x18031120
.long 0xBF820004
.long 0xBF8C0F70
.long 0xD3B24020, 0x18030120
.long 0xBF820000
.long 0x0A1C1C30
	;; [unrolled: 1-line block ×10, first 2 shown]
.long 0xD0CC0038, 0x0001004A
.long 0xD100000C, 0x00E218F2
.long 0xD100000D, 0x00E21AF2
.long 0xD3B1400E, 0x18021D0C
.long 0xD3B2400E, 0x18021D0A
.long 0x0A1C1C3E
.long 0x0A1C1CFF, 0x4038AA3B
.long 0x7E1C410E
.long 0xBF800000
.long 0x021C1CF2
.long 0x7E1C450E
.long 0xBF800000
.long 0xD1CB000E, 0x03CA1CF5
.long 0x0A1C1C3F
.long 0x0A1E1E3E
.long 0x0A1E1EFF, 0x4038AA3B
.long 0x7E1E410F
.long 0xBF800000
.long 0x021E1EF2
.long 0x7E1E450F
.long 0xBF800000
.long 0xD1CB000F, 0x03CA1EF5
.long 0x0A1E1E3F
.long 0x7E1C150E
.long 0x7E1E150F
.long 0xD2A0000E, 0x00021F0E
.long 0xE070D000, 0x80140E07
.long 0xBF800000
.long 0xD0CC0038, 0x0001004A
.long 0xD100000C, 0x00E218F2
.long 0xD100000D, 0x00E21AF2
.long 0xD3B14014, 0x1802290C
.long 0xD3B24014, 0x1802290A
.long 0x0A28283E
.long 0x0A2828FF, 0x4038AA3B
.long 0x7E284114
.long 0xBF800000
.long 0x022828F2
.long 0x7E284514
.long 0xBF800000
.long 0xD1CB0014, 0x03CA28F5
.long 0x0A28283F
.long 0x0A2A2A3E
.long 0x0A2A2AFF, 0x4038AA3B
.long 0x7E2A4115
.long 0xBF800000
.long 0x022A2AF2
.long 0x7E2A4515
.long 0xBF800000
.long 0xD1CB0015, 0x03CA2AF5
.long 0x0A2A2A3F
.long 0x7E281514
.long 0x7E2A1515
.long 0xD2A00014, 0x00022B14
.long 0xE070D000, 0x80141411
.long 0xBF800000
	;; [unrolled: 28-line block ×4, first 2 shown]
.long 0xBF800000
.long 0xBF820BBD
.long 0x7E4402FF, 0x80000000
.long 0xD0C90054, 0x00003900
	;; [unrolled: 1-line block ×3, first 2 shown]
.long 0x86D85854
.long 0x925402FF, 0x00000080
.long 0xD1350008, 0x0000A900
.long 0x24101082
.long 0xD1000008, 0x01621122
.long 0xBF8CC07F
.long 0xBF8A0000
.long 0xD8EC0000, 0x0A000008
.long 0x24120082
.long 0xE0541000, 0x80120C09
.long 0xD1FE0006, 0x020A0103
	;; [unrolled: 1-line block ×10, first 2 shown]
.long 0x86D85854
.long 0x925402FF, 0x00000080
.long 0xD1350012, 0x0000A900
.long 0x24242482
.long 0xD1000012, 0x01622522
.long 0x24260082
.long 0xD1FE0010, 0x020A0103
.long 0xD1000010, 0x01622122
.long 0xD1FE0011, 0x02060103
.long 0xD1000011, 0x01622322
.long 0xD1196A01, 0x00010301
.long 0xD1340002, 0x00005502
.long 0xD1340003, 0x00005103
.long 0xD0C90054, 0x00003900
.long 0xD0C90058, 0x00003B01
.long 0x86D85854
.long 0x925402FF, 0x00000080
.long 0xD1350018, 0x0000A900
.long 0x24303082
.long 0xD1000018, 0x01623122
.long 0x24320082
.long 0xD1FE0016, 0x020A0103
.long 0xD1000016, 0x01622D22
.long 0xD1FE0017, 0x02060103
.long 0xD1000017, 0x01622F22
.long 0xD1196A01, 0x00010301
.long 0xD1340002, 0x00005502
.long 0xD1340003, 0x00005103
.long 0xD0C90054, 0x00003900
.long 0xD0C90058, 0x00003B01
	;; [unrolled: 15-line block ×3, first 2 shown]
.long 0xD3D8401B, 0x18000106
.long 0xD3D84020, 0x18000103
	;; [unrolled: 1-line block ×3, first 2 shown]
.long 0xBF800001
.long 0xE074D000, 0x80030E06
.long 0xE074D000, 0x80031410
	;; [unrolled: 1-line block ×4, first 2 shown]
.long 0xBF800000
.long 0x92421415
	;; [unrolled: 1-line block ×16, first 2 shown]
.long 0xC2330CCC, 0x00000000
.long 0x965F811C
.long 0x925E811C
.long 0x80E2811D
.long 0x92628162
.long 0x96612A62
.long 0x92602A62
.long 0x805E605E
.long 0x825F615F
.long 0x80E2811E
.long 0x92628162
.long 0x96612B62
.long 0x92602B62
.long 0x805E605E
.long 0x825F615F
.long 0x8EDA825E
.long 0x7E4402FF, 0x80000000
.long 0xBEE00016
.long 0xBEE10017
	;; [unrolled: 1-line block ×7, first 2 shown]
.long 0xE054D000, 0x80180E06
.long 0xBE850032
.long 0x81858105
	;; [unrolled: 1-line block ×6, first 2 shown]
.long 0xE054D000, 0x80188006
.long 0x81858105
.long 0x80605A60
.long 0x82615B61
.long 0xBF008005
.long 0xBF850276
.long 0xE054D000, 0x80188806
.long 0x81858105
.long 0x80605A60
.long 0x82615B61
.long 0xBF008005
.long 0xBF850268
	;; [unrolled: 6-line block ×14, first 2 shown]
.long 0xE054D000, 0x8018F006
.long 0xBF8C0F7E
.long 0xD3B2400E, 0x1803010E
.long 0x81858105
.long 0xBF05CE05
.long 0xBF850217
.long 0x80605A60
.long 0x82615B61
.long 0xD0C6005C, 0x00000A80
.long 0xD1000023, 0x01724506
.long 0xE054D000, 0x80188023
.long 0xBF8C0F7E
.long 0xD3B2400E, 0x1803110E
.long 0x81858105
.long 0xBF05CE05
.long 0xBF850209
.long 0x80605A60
.long 0x82615B61
.long 0xD0C6005C, 0x00000A80
.long 0xD1000023, 0x01724506
	;; [unrolled: 10-line block ×15, first 2 shown]
.long 0xE054D000, 0x8018F023
.long 0xBF02CE05
.long 0xBF85FF2C
.long 0xBF8C0F7D
.long 0xD3B2400E, 0x1803010E
.long 0xBF8C0F7C
.long 0xD3B2400E, 0x1803110E
.long 0xBF8C0F7B
	;; [unrolled: 2-line block ×14, first 2 shown]
.long 0xBF8C0F7C
.long 0xD3B2400E, 0x1803010E
.long 0xBF8C0F7B
.long 0xD3B2400E, 0x1803110E
	;; [unrolled: 2-line block ×13, first 2 shown]
.long 0xBF8200F6
.long 0xBF8C0F7B
.long 0xD3B2400E, 0x1803010E
.long 0xBF8C0F7A
.long 0xD3B2400E, 0x1803110E
	;; [unrolled: 2-line block ×12, first 2 shown]
.long 0xBF8200D1
.long 0xBF8C0F7A
.long 0xD3B2400E, 0x1803010E
.long 0xBF8C0F79
.long 0xD3B2400E, 0x1803110E
	;; [unrolled: 2-line block ×11, first 2 shown]
.long 0xBF8200AF
.long 0xBF8C0F79
.long 0xD3B2400E, 0x1803010E
.long 0xBF8C0F78
.long 0xD3B2400E, 0x1803110E
.long 0xBF8C0F77
.long 0xD3B2400E, 0x1803210E
.long 0xBF8C0F76
.long 0xD3B2400E, 0x1803310E
.long 0xBF8C0F75
.long 0xD3B2400E, 0x1803410E
.long 0xBF8C0F74
.long 0xD3B2400E, 0x1803510E
.long 0xBF8C0F73
.long 0xD3B2400E, 0x1803610E
.long 0xBF8C0F72
.long 0xD3B2400E, 0x1803710E
.long 0xBF8C0F71
.long 0xD3B2400E, 0x1803810E
.long 0xBF8C0F70
.long 0xD3B2400E, 0x1803910E
.long 0xBF820090
.long 0xBF8C0F78
.long 0xD3B2400E, 0x1803010E
.long 0xBF8C0F77
.long 0xD3B2400E, 0x1803110E
	;; [unrolled: 2-line block ×9, first 2 shown]
.long 0xBF820074
.long 0xBF8C0F77
.long 0xD3B2400E, 0x1803010E
.long 0xBF8C0F76
.long 0xD3B2400E, 0x1803110E
	;; [unrolled: 2-line block ×8, first 2 shown]
.long 0xBF82005B
.long 0xBF8C0F76
.long 0xD3B2400E, 0x1803010E
.long 0xBF8C0F75
.long 0xD3B2400E, 0x1803110E
	;; [unrolled: 2-line block ×7, first 2 shown]
.long 0xBF820045
.long 0xBF8C0F75
.long 0xD3B2400E, 0x1803010E
.long 0xBF8C0F74
.long 0xD3B2400E, 0x1803110E
	;; [unrolled: 2-line block ×6, first 2 shown]
.long 0xBF820032
.long 0xBF8C0F74
.long 0xD3B2400E, 0x1803010E
.long 0xBF8C0F73
.long 0xD3B2400E, 0x1803110E
	;; [unrolled: 2-line block ×5, first 2 shown]
.long 0xBF820022
.long 0xBF8C0F73
.long 0xD3B2400E, 0x1803010E
.long 0xBF8C0F72
.long 0xD3B2400E, 0x1803110E
	;; [unrolled: 2-line block ×4, first 2 shown]
.long 0xBF820015
.long 0xBF8C0F72
.long 0xD3B2400E, 0x1803010E
.long 0xBF8C0F71
.long 0xD3B2400E, 0x1803110E
.long 0xBF8C0F70
.long 0xD3B2400E, 0x1803210E
.long 0xBF82000B
.long 0xBF8C0F71
.long 0xD3B2400E, 0x1803010E
.long 0xBF8C0F70
.long 0xD3B2400E, 0x1803110E
.long 0xBF820004
.long 0xBF8C0F70
.long 0xD3B2400E, 0x1803010E
.long 0xBF820000
.long 0x7E4402FF, 0x80000000
.long 0xBEE00016
.long 0xBEE10017
	;; [unrolled: 1-line block ×4, first 2 shown]
.long 0xE054D000, 0x80181410
.long 0xBE850032
.long 0x81858105
.long 0x80605A60
.long 0x82615B61
.long 0xBF008005
.long 0xBF850281
.long 0xE054D000, 0x80188010
.long 0x81858105
.long 0x80605A60
.long 0x82615B61
.long 0xBF008005
.long 0xBF850276
.long 0xE054D000, 0x80188810
.long 0x81858105
.long 0x80605A60
.long 0x82615B61
.long 0xBF008005
.long 0xBF850268
	;; [unrolled: 6-line block ×14, first 2 shown]
.long 0xE054D000, 0x8018F010
.long 0xBF8C0F7E
.long 0xD3B24014, 0x18030114
.long 0x81858105
.long 0xBF05CE05
.long 0xBF850217
.long 0x80605A60
.long 0x82615B61
.long 0xD0C6005C, 0x00000A80
.long 0xD1000023, 0x01724510
.long 0xE054D000, 0x80188023
.long 0xBF8C0F7E
.long 0xD3B24014, 0x18031114
.long 0x81858105
.long 0xBF05CE05
.long 0xBF850209
.long 0x80605A60
.long 0x82615B61
.long 0xD0C6005C, 0x00000A80
.long 0xD1000023, 0x01724510
	;; [unrolled: 10-line block ×15, first 2 shown]
.long 0xE054D000, 0x8018F023
.long 0xBF02CE05
.long 0xBF85FF2C
	;; [unrolled: 1-line block ×3, first 2 shown]
.long 0xD3B24014, 0x18030114
.long 0xBF8C0F7C
.long 0xD3B24014, 0x18031114
.long 0xBF8C0F7B
	;; [unrolled: 2-line block ×14, first 2 shown]
.long 0xBF8C0F7C
.long 0xD3B24014, 0x18030114
.long 0xBF8C0F7B
.long 0xD3B24014, 0x18031114
	;; [unrolled: 2-line block ×13, first 2 shown]
.long 0xBF8200F6
.long 0xBF8C0F7B
.long 0xD3B24014, 0x18030114
.long 0xBF8C0F7A
.long 0xD3B24014, 0x18031114
	;; [unrolled: 2-line block ×12, first 2 shown]
.long 0xBF8200D1
.long 0xBF8C0F7A
.long 0xD3B24014, 0x18030114
.long 0xBF8C0F79
.long 0xD3B24014, 0x18031114
	;; [unrolled: 2-line block ×11, first 2 shown]
.long 0xBF8200AF
.long 0xBF8C0F79
.long 0xD3B24014, 0x18030114
.long 0xBF8C0F78
.long 0xD3B24014, 0x18031114
	;; [unrolled: 2-line block ×10, first 2 shown]
.long 0xBF820090
.long 0xBF8C0F78
.long 0xD3B24014, 0x18030114
.long 0xBF8C0F77
.long 0xD3B24014, 0x18031114
	;; [unrolled: 2-line block ×9, first 2 shown]
.long 0xBF820074
.long 0xBF8C0F77
.long 0xD3B24014, 0x18030114
.long 0xBF8C0F76
.long 0xD3B24014, 0x18031114
	;; [unrolled: 2-line block ×8, first 2 shown]
.long 0xBF82005B
.long 0xBF8C0F76
.long 0xD3B24014, 0x18030114
.long 0xBF8C0F75
.long 0xD3B24014, 0x18031114
	;; [unrolled: 2-line block ×7, first 2 shown]
.long 0xBF820045
.long 0xBF8C0F75
.long 0xD3B24014, 0x18030114
.long 0xBF8C0F74
.long 0xD3B24014, 0x18031114
	;; [unrolled: 2-line block ×6, first 2 shown]
.long 0xBF820032
.long 0xBF8C0F74
.long 0xD3B24014, 0x18030114
.long 0xBF8C0F73
.long 0xD3B24014, 0x18031114
	;; [unrolled: 2-line block ×5, first 2 shown]
.long 0xBF820022
.long 0xBF8C0F73
.long 0xD3B24014, 0x18030114
.long 0xBF8C0F72
.long 0xD3B24014, 0x18031114
	;; [unrolled: 2-line block ×4, first 2 shown]
.long 0xBF820015
.long 0xBF8C0F72
.long 0xD3B24014, 0x18030114
.long 0xBF8C0F71
.long 0xD3B24014, 0x18031114
	;; [unrolled: 2-line block ×3, first 2 shown]
.long 0xBF82000B
.long 0xBF8C0F71
.long 0xD3B24014, 0x18030114
.long 0xBF8C0F70
.long 0xD3B24014, 0x18031114
.long 0xBF820004
.long 0xBF8C0F70
.long 0xD3B24014, 0x18030114
.long 0xBF820000
.long 0x7E4402FF, 0x80000000
.long 0xBEE00016
.long 0xBEE10017
	;; [unrolled: 1-line block ×4, first 2 shown]
.long 0xE054D000, 0x80181A16
.long 0xBE850032
.long 0x81858105
	;; [unrolled: 1-line block ×6, first 2 shown]
.long 0xE054D000, 0x80188016
.long 0x81858105
.long 0x80605A60
.long 0x82615B61
.long 0xBF008005
.long 0xBF850276
.long 0xE054D000, 0x80188816
.long 0x81858105
.long 0x80605A60
.long 0x82615B61
.long 0xBF008005
.long 0xBF850268
	;; [unrolled: 6-line block ×14, first 2 shown]
.long 0xE054D000, 0x8018F016
.long 0xBF8C0F7E
.long 0xD3B2401A, 0x1803011A
.long 0x81858105
.long 0xBF05CE05
.long 0xBF850217
.long 0x80605A60
.long 0x82615B61
.long 0xD0C6005C, 0x00000A80
.long 0xD1000023, 0x01724516
.long 0xE054D000, 0x80188023
.long 0xBF8C0F7E
.long 0xD3B2401A, 0x1803111A
.long 0x81858105
.long 0xBF05CE05
.long 0xBF850209
.long 0x80605A60
.long 0x82615B61
.long 0xD0C6005C, 0x00000A80
.long 0xD1000023, 0x01724516
	;; [unrolled: 10-line block ×15, first 2 shown]
.long 0xE054D000, 0x8018F023
.long 0xBF02CE05
.long 0xBF85FF2C
	;; [unrolled: 1-line block ×3, first 2 shown]
.long 0xD3B2401A, 0x1803011A
.long 0xBF8C0F7C
.long 0xD3B2401A, 0x1803111A
.long 0xBF8C0F7B
	;; [unrolled: 2-line block ×14, first 2 shown]
.long 0xBF8C0F7C
.long 0xD3B2401A, 0x1803011A
.long 0xBF8C0F7B
.long 0xD3B2401A, 0x1803111A
	;; [unrolled: 2-line block ×13, first 2 shown]
.long 0xBF8200F6
.long 0xBF8C0F7B
.long 0xD3B2401A, 0x1803011A
.long 0xBF8C0F7A
.long 0xD3B2401A, 0x1803111A
	;; [unrolled: 2-line block ×12, first 2 shown]
.long 0xBF8200D1
.long 0xBF8C0F7A
.long 0xD3B2401A, 0x1803011A
.long 0xBF8C0F79
.long 0xD3B2401A, 0x1803111A
.long 0xBF8C0F78
.long 0xD3B2401A, 0x1803211A
.long 0xBF8C0F77
.long 0xD3B2401A, 0x1803311A
.long 0xBF8C0F76
.long 0xD3B2401A, 0x1803411A
.long 0xBF8C0F75
.long 0xD3B2401A, 0x1803511A
.long 0xBF8C0F74
.long 0xD3B2401A, 0x1803611A
.long 0xBF8C0F73
.long 0xD3B2401A, 0x1803711A
.long 0xBF8C0F72
.long 0xD3B2401A, 0x1803811A
.long 0xBF8C0F71
.long 0xD3B2401A, 0x1803911A
.long 0xBF8C0F70
.long 0xD3B2401A, 0x1803A11A
.long 0xBF8200AF
.long 0xBF8C0F79
.long 0xD3B2401A, 0x1803011A
.long 0xBF8C0F78
.long 0xD3B2401A, 0x1803111A
.long 0xBF8C0F77
.long 0xD3B2401A, 0x1803211A
.long 0xBF8C0F76
.long 0xD3B2401A, 0x1803311A
.long 0xBF8C0F75
.long 0xD3B2401A, 0x1803411A
.long 0xBF8C0F74
.long 0xD3B2401A, 0x1803511A
.long 0xBF8C0F73
.long 0xD3B2401A, 0x1803611A
.long 0xBF8C0F72
.long 0xD3B2401A, 0x1803711A
.long 0xBF8C0F71
.long 0xD3B2401A, 0x1803811A
.long 0xBF8C0F70
.long 0xD3B2401A, 0x1803911A
.long 0xBF820090
.long 0xBF8C0F78
.long 0xD3B2401A, 0x1803011A
.long 0xBF8C0F77
.long 0xD3B2401A, 0x1803111A
.long 0xBF8C0F76
.long 0xD3B2401A, 0x1803211A
.long 0xBF8C0F75
.long 0xD3B2401A, 0x1803311A
.long 0xBF8C0F74
.long 0xD3B2401A, 0x1803411A
.long 0xBF8C0F73
.long 0xD3B2401A, 0x1803511A
.long 0xBF8C0F72
.long 0xD3B2401A, 0x1803611A
.long 0xBF8C0F71
.long 0xD3B2401A, 0x1803711A
.long 0xBF8C0F70
.long 0xD3B2401A, 0x1803811A
.long 0xBF820074
.long 0xBF8C0F77
.long 0xD3B2401A, 0x1803011A
.long 0xBF8C0F76
.long 0xD3B2401A, 0x1803111A
	;; [unrolled: 2-line block ×8, first 2 shown]
.long 0xBF82005B
.long 0xBF8C0F76
.long 0xD3B2401A, 0x1803011A
.long 0xBF8C0F75
.long 0xD3B2401A, 0x1803111A
	;; [unrolled: 2-line block ×7, first 2 shown]
.long 0xBF820045
.long 0xBF8C0F75
.long 0xD3B2401A, 0x1803011A
.long 0xBF8C0F74
.long 0xD3B2401A, 0x1803111A
	;; [unrolled: 2-line block ×6, first 2 shown]
.long 0xBF820032
.long 0xBF8C0F74
.long 0xD3B2401A, 0x1803011A
.long 0xBF8C0F73
.long 0xD3B2401A, 0x1803111A
	;; [unrolled: 2-line block ×5, first 2 shown]
.long 0xBF820022
.long 0xBF8C0F73
.long 0xD3B2401A, 0x1803011A
.long 0xBF8C0F72
.long 0xD3B2401A, 0x1803111A
	;; [unrolled: 2-line block ×4, first 2 shown]
.long 0xBF820015
.long 0xBF8C0F72
.long 0xD3B2401A, 0x1803011A
.long 0xBF8C0F71
.long 0xD3B2401A, 0x1803111A
.long 0xBF8C0F70
.long 0xD3B2401A, 0x1803211A
.long 0xBF82000B
.long 0xBF8C0F71
.long 0xD3B2401A, 0x1803011A
.long 0xBF8C0F70
.long 0xD3B2401A, 0x1803111A
.long 0xBF820004
.long 0xBF8C0F70
.long 0xD3B2401A, 0x1803011A
.long 0xBF820000
.long 0x7E4402FF, 0x80000000
.long 0xBEE00016
.long 0xBEE10017
	;; [unrolled: 1-line block ×4, first 2 shown]
.long 0xE054D000, 0x8018201C
.long 0xBE850032
.long 0x81858105
	;; [unrolled: 1-line block ×6, first 2 shown]
.long 0xE054D000, 0x8018801C
.long 0x81858105
.long 0x80605A60
.long 0x82615B61
.long 0xBF008005
.long 0xBF850276
.long 0xE054D000, 0x8018881C
.long 0x81858105
.long 0x80605A60
.long 0x82615B61
.long 0xBF008005
.long 0xBF850268
	;; [unrolled: 6-line block ×14, first 2 shown]
.long 0xE054D000, 0x8018F01C
.long 0xBF8C0F7E
.long 0xD3B24020, 0x18030120
.long 0x81858105
.long 0xBF05CE05
.long 0xBF850217
.long 0x80605A60
.long 0x82615B61
.long 0xD0C6005C, 0x00000A80
.long 0xD1000023, 0x0172451C
.long 0xE054D000, 0x80188023
.long 0xBF8C0F7E
.long 0xD3B24020, 0x18031120
.long 0x81858105
.long 0xBF05CE05
.long 0xBF850209
.long 0x80605A60
.long 0x82615B61
.long 0xD0C6005C, 0x00000A80
.long 0xD1000023, 0x0172451C
	;; [unrolled: 10-line block ×15, first 2 shown]
.long 0xE054D000, 0x8018F023
.long 0xBF02CE05
.long 0xBF85FF2C
	;; [unrolled: 1-line block ×3, first 2 shown]
.long 0xD3B24020, 0x18030120
.long 0xBF8C0F7C
.long 0xD3B24020, 0x18031120
.long 0xBF8C0F7B
	;; [unrolled: 2-line block ×14, first 2 shown]
.long 0xBF8C0F7C
.long 0xD3B24020, 0x18030120
.long 0xBF8C0F7B
.long 0xD3B24020, 0x18031120
	;; [unrolled: 2-line block ×13, first 2 shown]
.long 0xBF8200F6
.long 0xBF8C0F7B
.long 0xD3B24020, 0x18030120
.long 0xBF8C0F7A
.long 0xD3B24020, 0x18031120
	;; [unrolled: 2-line block ×12, first 2 shown]
.long 0xBF8200D1
.long 0xBF8C0F7A
.long 0xD3B24020, 0x18030120
.long 0xBF8C0F79
.long 0xD3B24020, 0x18031120
	;; [unrolled: 2-line block ×11, first 2 shown]
.long 0xBF8200AF
.long 0xBF8C0F79
.long 0xD3B24020, 0x18030120
.long 0xBF8C0F78
.long 0xD3B24020, 0x18031120
	;; [unrolled: 2-line block ×10, first 2 shown]
.long 0xBF820090
.long 0xBF8C0F78
.long 0xD3B24020, 0x18030120
.long 0xBF8C0F77
.long 0xD3B24020, 0x18031120
	;; [unrolled: 2-line block ×9, first 2 shown]
.long 0xBF820074
.long 0xBF8C0F77
.long 0xD3B24020, 0x18030120
.long 0xBF8C0F76
.long 0xD3B24020, 0x18031120
	;; [unrolled: 2-line block ×8, first 2 shown]
.long 0xBF82005B
.long 0xBF8C0F76
.long 0xD3B24020, 0x18030120
.long 0xBF8C0F75
.long 0xD3B24020, 0x18031120
	;; [unrolled: 2-line block ×7, first 2 shown]
.long 0xBF820045
.long 0xBF8C0F75
.long 0xD3B24020, 0x18030120
.long 0xBF8C0F74
.long 0xD3B24020, 0x18031120
	;; [unrolled: 2-line block ×6, first 2 shown]
.long 0xBF820032
.long 0xBF8C0F74
.long 0xD3B24020, 0x18030120
.long 0xBF8C0F73
.long 0xD3B24020, 0x18031120
	;; [unrolled: 2-line block ×5, first 2 shown]
.long 0xBF820022
.long 0xBF8C0F73
.long 0xD3B24020, 0x18030120
.long 0xBF8C0F72
.long 0xD3B24020, 0x18031120
	;; [unrolled: 2-line block ×4, first 2 shown]
.long 0xBF820015
.long 0xBF8C0F72
.long 0xD3B24020, 0x18030120
.long 0xBF8C0F71
.long 0xD3B24020, 0x18031120
	;; [unrolled: 2-line block ×3, first 2 shown]
.long 0xBF82000B
.long 0xBF8C0F71
.long 0xD3B24020, 0x18030120
.long 0xBF8C0F70
.long 0xD3B24020, 0x18031120
.long 0xBF820004
.long 0xBF8C0F70
.long 0xD3B24020, 0x18030120
.long 0xBF820000
.long 0x0A1C1C30
	;; [unrolled: 1-line block ×10, first 2 shown]
.long 0xD0CC0038, 0x0001004A
.long 0xD100000C, 0x00E218F2
.long 0xD100000D, 0x00E21AF2
.long 0xD3B1400E, 0x18021D0C
.long 0xD3B2400E, 0x18021D0A
.long 0x0A081CFF, 0x3D372713
.long 0xD1CB0004, 0x03CA090E
.long 0x0A08090E
.long 0x0A0808FF, 0x40135761
.long 0x7E084104
.long 0xBF800000
.long 0x020808F2
.long 0x7E084504
.long 0xBF800000
.long 0xD1CB0004, 0x03D208F5
.long 0x0A08090E
.long 0x0A0808F0
.long 0x0A1C083E
.long 0x0A081EFF, 0x3D372713
.long 0xD1CB0004, 0x03CA090F
.long 0x0A08090F
.long 0x0A0808FF, 0x40135761
.long 0x7E084104
.long 0xBF800000
.long 0x020808F2
.long 0x7E084504
.long 0xBF800000
.long 0xD1CB0004, 0x03D208F5
.long 0x0A08090F
.long 0x0A0808F0
.long 0x0A1E083E
.long 0x7E1C150E
.long 0x7E1E150F
.long 0xD2A0000E, 0x00021F0E
.long 0xE070D000, 0x80140E07
.long 0xBF800000
.long 0xD0CC0038, 0x0001004A
.long 0xD100000C, 0x00E218F2
.long 0xD100000D, 0x00E21AF2
.long 0xD3B14014, 0x1802290C
.long 0xD3B24014, 0x1802290A
.long 0x0A0828FF, 0x3D372713
.long 0xD1CB0004, 0x03CA0914
.long 0x0A080914
.long 0x0A0808FF, 0x40135761
.long 0x7E084104
.long 0xBF800000
.long 0x020808F2
.long 0x7E084504
.long 0xBF800000
.long 0xD1CB0004, 0x03D208F5
.long 0x0A080914
.long 0x0A0808F0
.long 0x0A28083E
.long 0x0A082AFF, 0x3D372713
.long 0xD1CB0004, 0x03CA0915
.long 0x0A080915
.long 0x0A0808FF, 0x40135761
.long 0x7E084104
.long 0xBF800000
.long 0x020808F2
.long 0x7E084504
.long 0xBF800000
.long 0xD1CB0004, 0x03D208F5
.long 0x0A080915
.long 0x0A0808F0
.long 0x0A2A083E
.long 0x7E281514
.long 0x7E2A1515
.long 0xD2A00014, 0x00022B14
.long 0xE070D000, 0x80141411
.long 0xBF800000
	;; [unrolled: 36-line block ×4, first 2 shown]
.long 0xBF800000
.long 0xBED41C00
.long 0x815684FF, 0x00033A5C
.long 0x80545654
.long 0x82558055
	;; [unrolled: 1-line block ×3, first 2 shown]
.long 0x86541CFF, 0x0000007F
.long 0x805514C1
.long 0xBF095502
	;; [unrolled: 1-line block ×6, first 2 shown]
.long 0x815684FF, 0x00019888
.long 0x80545654
.long 0x82558055
	;; [unrolled: 1-line block ×10, first 2 shown]
.long 0x815684FF, 0x00019858
.long 0x80545654
.long 0x82558055
.long 0xBE801D54
.long 0xB4400000
.long 0xBF850016
.long 0xB4400001
.long 0xBF850B34
.long 0xB4400002
.long 0xBF851662
.long 0xB4400003
.long 0xBF85219B
.long 0xB4400004
.long 0xBF852D34
.long 0xB4400005
.long 0xBF85386D
.long 0xB4400006
.long 0xBF854396
.long 0xB4400007
.long 0xBF854EE7
.long 0xB4400009
.long 0xBF840006
.long 0xBED41C00
.long 0x815684FF, 0x00016958
.long 0x80545654
.long 0x82558055
	;; [unrolled: 1-line block ×3, first 2 shown]
.long 0xD1FE0008, 0x02060102
.long 0xE0501000, 0x80040C08
.long 0x924202FF, 0x00000080
.long 0xD1350009, 0x00008500
.long 0x24121282
.long 0xBF8CC07F
.long 0xBF8A0000
.long 0xD8EC0000, 0x0E000009
.long 0x24140082
.long 0xE0541000, 0x8012100A
.long 0x8E42812A
.long 0x80104210
.long 0x82118011
.long 0xE0501000, 0x80041408
.long 0x8E42812A
.long 0x80104210
	;; [unrolled: 4-line block ×3, first 2 shown]
.long 0x82118011
.long 0xE0501000, 0x80041C08
.long 0xD1FE0006, 0x020A0103
	;; [unrolled: 1-line block ×11, first 2 shown]
.long 0xBF800001
.long 0xE074D000, 0x80031206
.long 0x8E428228
.long 0x800C420C
.long 0x820D800D
.long 0xE074D000, 0x80031606
.long 0x8E428228
.long 0x800C420C
	;; [unrolled: 4-line block ×4, first 2 shown]
.long 0x92330454
.long 0x92411403
	;; [unrolled: 1-line block ×14, first 2 shown]
.long 0xC2330CCC, 0x00000000
.long 0x965B811C
.long 0x925A811C
	;; [unrolled: 1-line block ×15, first 2 shown]
.long 0x7E1602FF, 0x80000000
.long 0xBEDC0016
.long 0xBEDD0017
	;; [unrolled: 1-line block ×7, first 2 shown]
.long 0xE054D000, 0x80171206
.long 0xBE850032
.long 0x81858105
	;; [unrolled: 1-line block ×6, first 2 shown]
.long 0xE054D000, 0x80178006
.long 0x81858105
.long 0x805C565C
.long 0x825D575D
.long 0xBF008005
.long 0xBF850276
.long 0xE054D000, 0x80178806
.long 0x81858105
.long 0x805C565C
.long 0x825D575D
.long 0xBF008005
.long 0xBF850268
	;; [unrolled: 6-line block ×14, first 2 shown]
.long 0xE054D000, 0x8017F006
.long 0xBF8C0F7E
.long 0xD3B24012, 0x18030112
.long 0x81858105
.long 0xBF05CE05
.long 0xBF850217
.long 0x805C565C
.long 0x825D575D
.long 0xD0C60058, 0x00000A80
.long 0xD1000020, 0x01621706
.long 0xE054D000, 0x80178020
.long 0xBF8C0F7E
.long 0xD3B24012, 0x18031112
.long 0x81858105
.long 0xBF05CE05
.long 0xBF850209
.long 0x805C565C
.long 0x825D575D
.long 0xD0C60058, 0x00000A80
.long 0xD1000020, 0x01621706
	;; [unrolled: 10-line block ×15, first 2 shown]
.long 0xE054D000, 0x8017F020
.long 0xBF02CE05
.long 0xBF85FF2C
	;; [unrolled: 1-line block ×3, first 2 shown]
.long 0xD3B24012, 0x18030112
.long 0xBF8C0F7C
.long 0xD3B24012, 0x18031112
.long 0xBF8C0F7B
	;; [unrolled: 2-line block ×14, first 2 shown]
.long 0xBF8C0F7C
.long 0xD3B24012, 0x18030112
.long 0xBF8C0F7B
.long 0xD3B24012, 0x18031112
	;; [unrolled: 2-line block ×13, first 2 shown]
.long 0xBF8200F6
.long 0xBF8C0F7B
.long 0xD3B24012, 0x18030112
.long 0xBF8C0F7A
.long 0xD3B24012, 0x18031112
	;; [unrolled: 2-line block ×12, first 2 shown]
.long 0xBF8200D1
.long 0xBF8C0F7A
.long 0xD3B24012, 0x18030112
.long 0xBF8C0F79
.long 0xD3B24012, 0x18031112
	;; [unrolled: 2-line block ×11, first 2 shown]
.long 0xBF8200AF
.long 0xBF8C0F79
.long 0xD3B24012, 0x18030112
.long 0xBF8C0F78
.long 0xD3B24012, 0x18031112
	;; [unrolled: 2-line block ×10, first 2 shown]
.long 0xBF820090
.long 0xBF8C0F78
.long 0xD3B24012, 0x18030112
.long 0xBF8C0F77
.long 0xD3B24012, 0x18031112
	;; [unrolled: 2-line block ×9, first 2 shown]
.long 0xBF820074
.long 0xBF8C0F77
.long 0xD3B24012, 0x18030112
.long 0xBF8C0F76
.long 0xD3B24012, 0x18031112
	;; [unrolled: 2-line block ×8, first 2 shown]
.long 0xBF82005B
.long 0xBF8C0F76
.long 0xD3B24012, 0x18030112
.long 0xBF8C0F75
.long 0xD3B24012, 0x18031112
	;; [unrolled: 2-line block ×7, first 2 shown]
.long 0xBF820045
.long 0xBF8C0F75
.long 0xD3B24012, 0x18030112
.long 0xBF8C0F74
.long 0xD3B24012, 0x18031112
	;; [unrolled: 2-line block ×6, first 2 shown]
.long 0xBF820032
.long 0xBF8C0F74
.long 0xD3B24012, 0x18030112
.long 0xBF8C0F73
.long 0xD3B24012, 0x18031112
	;; [unrolled: 2-line block ×5, first 2 shown]
.long 0xBF820022
.long 0xBF8C0F73
.long 0xD3B24012, 0x18030112
.long 0xBF8C0F72
.long 0xD3B24012, 0x18031112
	;; [unrolled: 2-line block ×4, first 2 shown]
.long 0xBF820015
.long 0xBF8C0F72
.long 0xD3B24012, 0x18030112
.long 0xBF8C0F71
.long 0xD3B24012, 0x18031112
	;; [unrolled: 2-line block ×3, first 2 shown]
.long 0xBF82000B
.long 0xBF8C0F71
.long 0xD3B24012, 0x18030112
.long 0xBF8C0F70
.long 0xD3B24012, 0x18031112
.long 0xBF820004
.long 0xBF8C0F70
.long 0xD3B24012, 0x18030112
.long 0xBF820000
.long 0x7E1602FF, 0x80000000
.long 0xBEDC0016
.long 0xBEDD0017
	;; [unrolled: 1-line block ×9, first 2 shown]
.long 0xE054D000, 0x80171606
.long 0xBE850032
.long 0x81858105
	;; [unrolled: 1-line block ×6, first 2 shown]
.long 0xE054D000, 0x80178006
.long 0x81858105
.long 0x805C565C
.long 0x825D575D
.long 0xBF008005
.long 0xBF850276
.long 0xE054D000, 0x80178806
.long 0x81858105
.long 0x805C565C
.long 0x825D575D
.long 0xBF008005
.long 0xBF850268
	;; [unrolled: 6-line block ×14, first 2 shown]
.long 0xE054D000, 0x8017F006
.long 0xBF8C0F7E
.long 0xD3B24016, 0x18030116
.long 0x81858105
.long 0xBF05CE05
.long 0xBF850217
.long 0x805C565C
.long 0x825D575D
.long 0xD0C60058, 0x00000A80
.long 0xD1000020, 0x01621706
.long 0xE054D000, 0x80178020
.long 0xBF8C0F7E
.long 0xD3B24016, 0x18031116
.long 0x81858105
.long 0xBF05CE05
.long 0xBF850209
.long 0x805C565C
.long 0x825D575D
.long 0xD0C60058, 0x00000A80
.long 0xD1000020, 0x01621706
	;; [unrolled: 10-line block ×15, first 2 shown]
.long 0xE054D000, 0x8017F020
.long 0xBF02CE05
.long 0xBF85FF2C
	;; [unrolled: 1-line block ×3, first 2 shown]
.long 0xD3B24016, 0x18030116
.long 0xBF8C0F7C
.long 0xD3B24016, 0x18031116
.long 0xBF8C0F7B
	;; [unrolled: 2-line block ×14, first 2 shown]
.long 0xBF8C0F7C
.long 0xD3B24016, 0x18030116
.long 0xBF8C0F7B
.long 0xD3B24016, 0x18031116
	;; [unrolled: 2-line block ×13, first 2 shown]
.long 0xBF8200F6
.long 0xBF8C0F7B
.long 0xD3B24016, 0x18030116
.long 0xBF8C0F7A
.long 0xD3B24016, 0x18031116
.long 0xBF8C0F79
.long 0xD3B24016, 0x18032116
.long 0xBF8C0F78
.long 0xD3B24016, 0x18033116
.long 0xBF8C0F77
.long 0xD3B24016, 0x18034116
.long 0xBF8C0F76
.long 0xD3B24016, 0x18035116
.long 0xBF8C0F75
.long 0xD3B24016, 0x18036116
.long 0xBF8C0F74
.long 0xD3B24016, 0x18037116
.long 0xBF8C0F73
.long 0xD3B24016, 0x18038116
.long 0xBF8C0F72
.long 0xD3B24016, 0x18039116
.long 0xBF8C0F71
.long 0xD3B24016, 0x1803A116
.long 0xBF8C0F70
.long 0xD3B24016, 0x1803B116
.long 0xBF8200D1
.long 0xBF8C0F7A
.long 0xD3B24016, 0x18030116
.long 0xBF8C0F79
.long 0xD3B24016, 0x18031116
	;; [unrolled: 2-line block ×11, first 2 shown]
.long 0xBF8200AF
.long 0xBF8C0F79
.long 0xD3B24016, 0x18030116
.long 0xBF8C0F78
.long 0xD3B24016, 0x18031116
	;; [unrolled: 2-line block ×10, first 2 shown]
.long 0xBF820090
.long 0xBF8C0F78
.long 0xD3B24016, 0x18030116
.long 0xBF8C0F77
.long 0xD3B24016, 0x18031116
	;; [unrolled: 2-line block ×9, first 2 shown]
.long 0xBF820074
.long 0xBF8C0F77
.long 0xD3B24016, 0x18030116
.long 0xBF8C0F76
.long 0xD3B24016, 0x18031116
	;; [unrolled: 2-line block ×8, first 2 shown]
.long 0xBF82005B
.long 0xBF8C0F76
.long 0xD3B24016, 0x18030116
.long 0xBF8C0F75
.long 0xD3B24016, 0x18031116
	;; [unrolled: 2-line block ×7, first 2 shown]
.long 0xBF820045
.long 0xBF8C0F75
.long 0xD3B24016, 0x18030116
.long 0xBF8C0F74
.long 0xD3B24016, 0x18031116
	;; [unrolled: 2-line block ×6, first 2 shown]
.long 0xBF820032
.long 0xBF8C0F74
.long 0xD3B24016, 0x18030116
.long 0xBF8C0F73
.long 0xD3B24016, 0x18031116
	;; [unrolled: 2-line block ×5, first 2 shown]
.long 0xBF820022
.long 0xBF8C0F73
.long 0xD3B24016, 0x18030116
.long 0xBF8C0F72
.long 0xD3B24016, 0x18031116
	;; [unrolled: 2-line block ×4, first 2 shown]
.long 0xBF820015
.long 0xBF8C0F72
.long 0xD3B24016, 0x18030116
.long 0xBF8C0F71
.long 0xD3B24016, 0x18031116
	;; [unrolled: 2-line block ×3, first 2 shown]
.long 0xBF82000B
.long 0xBF8C0F71
.long 0xD3B24016, 0x18030116
.long 0xBF8C0F70
.long 0xD3B24016, 0x18031116
.long 0xBF820004
.long 0xBF8C0F70
.long 0xD3B24016, 0x18030116
.long 0xBF820000
.long 0x7E1602FF, 0x80000000
.long 0xBEDC0016
.long 0xBEDD0017
	;; [unrolled: 1-line block ×9, first 2 shown]
.long 0xE054D000, 0x80171A06
.long 0xBE850032
.long 0x81858105
.long 0x805C565C
.long 0x825D575D
.long 0xBF008005
.long 0xBF850281
.long 0xE054D000, 0x80178006
.long 0x81858105
.long 0x805C565C
.long 0x825D575D
.long 0xBF008005
.long 0xBF850276
.long 0xE054D000, 0x80178806
.long 0x81858105
.long 0x805C565C
.long 0x825D575D
.long 0xBF008005
.long 0xBF850268
.long 0xE054D000, 0x80179006
.long 0x81858105
.long 0x805C565C
.long 0x825D575D
.long 0xBF008005
.long 0xBF850257
.long 0xE054D000, 0x80179806
.long 0x81858105
.long 0x805C565C
.long 0x825D575D
.long 0xBF008005
.long 0xBF850243
.long 0xE054D000, 0x8017A006
.long 0x81858105
.long 0x805C565C
.long 0x825D575D
.long 0xBF008005
.long 0xBF85022C
.long 0xE054D000, 0x8017A806
.long 0x81858105
.long 0x805C565C
.long 0x825D575D
.long 0xBF008005
.long 0xBF850212
.long 0xE054D000, 0x8017B006
.long 0x81858105
.long 0x805C565C
.long 0x825D575D
.long 0xBF008005
.long 0xBF8501F5
.long 0xE054D000, 0x8017B806
.long 0x81858105
.long 0x805C565C
.long 0x825D575D
.long 0xBF008005
.long 0xBF8501D5
.long 0xE054D000, 0x8017C006
.long 0x81858105
.long 0x805C565C
.long 0x825D575D
.long 0xBF008005
.long 0xBF8501B2
.long 0xE054D000, 0x8017C806
.long 0x81858105
.long 0x805C565C
.long 0x825D575D
.long 0xBF008005
.long 0xBF85018C
.long 0xE054D000, 0x8017D006
.long 0x81858105
.long 0x805C565C
.long 0x825D575D
.long 0xBF008005
.long 0xBF850163
.long 0xE054D000, 0x8017D806
.long 0x81858105
.long 0x805C565C
.long 0x825D575D
.long 0xBF008005
.long 0xBF850137
.long 0xE054D000, 0x8017E006
.long 0x81858105
.long 0x805C565C
.long 0x825D575D
.long 0xBF008005
.long 0xBF850108
.long 0xE054D000, 0x8017E806
.long 0x81858105
.long 0x805C565C
.long 0x825D575D
.long 0xBF008005
.long 0xBF8500D6
.long 0xE054D000, 0x8017F006
.long 0xBF8C0F7E
.long 0xD3B2401A, 0x1803011A
.long 0x81858105
.long 0xBF05CE05
.long 0xBF850217
.long 0x805C565C
.long 0x825D575D
.long 0xD0C60058, 0x00000A80
.long 0xD1000020, 0x01621706
.long 0xE054D000, 0x80178020
.long 0xBF8C0F7E
.long 0xD3B2401A, 0x1803111A
.long 0x81858105
.long 0xBF05CE05
.long 0xBF850209
.long 0x805C565C
.long 0x825D575D
.long 0xD0C60058, 0x00000A80
.long 0xD1000020, 0x01621706
	;; [unrolled: 10-line block ×15, first 2 shown]
.long 0xE054D000, 0x8017F020
.long 0xBF02CE05
.long 0xBF85FF2C
	;; [unrolled: 1-line block ×3, first 2 shown]
.long 0xD3B2401A, 0x1803011A
.long 0xBF8C0F7C
.long 0xD3B2401A, 0x1803111A
.long 0xBF8C0F7B
	;; [unrolled: 2-line block ×14, first 2 shown]
.long 0xBF8C0F7C
.long 0xD3B2401A, 0x1803011A
.long 0xBF8C0F7B
.long 0xD3B2401A, 0x1803111A
	;; [unrolled: 2-line block ×13, first 2 shown]
.long 0xBF8200F6
.long 0xBF8C0F7B
.long 0xD3B2401A, 0x1803011A
.long 0xBF8C0F7A
.long 0xD3B2401A, 0x1803111A
	;; [unrolled: 2-line block ×12, first 2 shown]
.long 0xBF8200D1
.long 0xBF8C0F7A
.long 0xD3B2401A, 0x1803011A
.long 0xBF8C0F79
.long 0xD3B2401A, 0x1803111A
	;; [unrolled: 2-line block ×11, first 2 shown]
.long 0xBF8200AF
.long 0xBF8C0F79
.long 0xD3B2401A, 0x1803011A
.long 0xBF8C0F78
.long 0xD3B2401A, 0x1803111A
	;; [unrolled: 2-line block ×10, first 2 shown]
.long 0xBF820090
.long 0xBF8C0F78
.long 0xD3B2401A, 0x1803011A
.long 0xBF8C0F77
.long 0xD3B2401A, 0x1803111A
.long 0xBF8C0F76
.long 0xD3B2401A, 0x1803211A
.long 0xBF8C0F75
.long 0xD3B2401A, 0x1803311A
.long 0xBF8C0F74
.long 0xD3B2401A, 0x1803411A
.long 0xBF8C0F73
.long 0xD3B2401A, 0x1803511A
.long 0xBF8C0F72
.long 0xD3B2401A, 0x1803611A
.long 0xBF8C0F71
.long 0xD3B2401A, 0x1803711A
.long 0xBF8C0F70
.long 0xD3B2401A, 0x1803811A
.long 0xBF820074
.long 0xBF8C0F77
.long 0xD3B2401A, 0x1803011A
.long 0xBF8C0F76
.long 0xD3B2401A, 0x1803111A
	;; [unrolled: 2-line block ×8, first 2 shown]
.long 0xBF82005B
.long 0xBF8C0F76
.long 0xD3B2401A, 0x1803011A
.long 0xBF8C0F75
.long 0xD3B2401A, 0x1803111A
	;; [unrolled: 2-line block ×7, first 2 shown]
.long 0xBF820045
.long 0xBF8C0F75
.long 0xD3B2401A, 0x1803011A
.long 0xBF8C0F74
.long 0xD3B2401A, 0x1803111A
	;; [unrolled: 2-line block ×6, first 2 shown]
.long 0xBF820032
.long 0xBF8C0F74
.long 0xD3B2401A, 0x1803011A
.long 0xBF8C0F73
.long 0xD3B2401A, 0x1803111A
	;; [unrolled: 2-line block ×5, first 2 shown]
.long 0xBF820022
.long 0xBF8C0F73
.long 0xD3B2401A, 0x1803011A
.long 0xBF8C0F72
.long 0xD3B2401A, 0x1803111A
	;; [unrolled: 2-line block ×4, first 2 shown]
.long 0xBF820015
.long 0xBF8C0F72
.long 0xD3B2401A, 0x1803011A
.long 0xBF8C0F71
.long 0xD3B2401A, 0x1803111A
	;; [unrolled: 2-line block ×3, first 2 shown]
.long 0xBF82000B
.long 0xBF8C0F71
.long 0xD3B2401A, 0x1803011A
.long 0xBF8C0F70
.long 0xD3B2401A, 0x1803111A
.long 0xBF820004
.long 0xBF8C0F70
.long 0xD3B2401A, 0x1803011A
.long 0xBF820000
.long 0x7E1602FF, 0x80000000
.long 0xBEDC0016
.long 0xBEDD0017
	;; [unrolled: 1-line block ×9, first 2 shown]
.long 0xE054D000, 0x80171E06
.long 0xBE850032
.long 0x81858105
	;; [unrolled: 1-line block ×6, first 2 shown]
.long 0xE054D000, 0x80178006
.long 0x81858105
.long 0x805C565C
.long 0x825D575D
.long 0xBF008005
.long 0xBF850276
.long 0xE054D000, 0x80178806
.long 0x81858105
.long 0x805C565C
.long 0x825D575D
.long 0xBF008005
.long 0xBF850268
	;; [unrolled: 6-line block ×14, first 2 shown]
.long 0xE054D000, 0x8017F006
.long 0xBF8C0F7E
.long 0xD3B2401E, 0x1803011E
.long 0x81858105
.long 0xBF05CE05
.long 0xBF850217
.long 0x805C565C
.long 0x825D575D
.long 0xD0C60058, 0x00000A80
.long 0xD1000020, 0x01621706
.long 0xE054D000, 0x80178020
.long 0xBF8C0F7E
.long 0xD3B2401E, 0x1803111E
.long 0x81858105
.long 0xBF05CE05
.long 0xBF850209
.long 0x805C565C
.long 0x825D575D
.long 0xD0C60058, 0x00000A80
.long 0xD1000020, 0x01621706
	;; [unrolled: 10-line block ×15, first 2 shown]
.long 0xE054D000, 0x8017F020
.long 0xBF02CE05
.long 0xBF85FF2C
	;; [unrolled: 1-line block ×3, first 2 shown]
.long 0xD3B2401E, 0x1803011E
.long 0xBF8C0F7C
.long 0xD3B2401E, 0x1803111E
.long 0xBF8C0F7B
	;; [unrolled: 2-line block ×14, first 2 shown]
.long 0xBF8C0F7C
.long 0xD3B2401E, 0x1803011E
.long 0xBF8C0F7B
.long 0xD3B2401E, 0x1803111E
	;; [unrolled: 2-line block ×13, first 2 shown]
.long 0xBF8200F6
.long 0xBF8C0F7B
.long 0xD3B2401E, 0x1803011E
.long 0xBF8C0F7A
.long 0xD3B2401E, 0x1803111E
	;; [unrolled: 2-line block ×12, first 2 shown]
.long 0xBF8200D1
.long 0xBF8C0F7A
.long 0xD3B2401E, 0x1803011E
.long 0xBF8C0F79
.long 0xD3B2401E, 0x1803111E
	;; [unrolled: 2-line block ×11, first 2 shown]
.long 0xBF8200AF
.long 0xBF8C0F79
.long 0xD3B2401E, 0x1803011E
.long 0xBF8C0F78
.long 0xD3B2401E, 0x1803111E
	;; [unrolled: 2-line block ×10, first 2 shown]
.long 0xBF820090
.long 0xBF8C0F78
.long 0xD3B2401E, 0x1803011E
.long 0xBF8C0F77
.long 0xD3B2401E, 0x1803111E
	;; [unrolled: 2-line block ×9, first 2 shown]
.long 0xBF820074
.long 0xBF8C0F77
.long 0xD3B2401E, 0x1803011E
.long 0xBF8C0F76
.long 0xD3B2401E, 0x1803111E
	;; [unrolled: 2-line block ×8, first 2 shown]
.long 0xBF82005B
.long 0xBF8C0F76
.long 0xD3B2401E, 0x1803011E
.long 0xBF8C0F75
.long 0xD3B2401E, 0x1803111E
	;; [unrolled: 2-line block ×7, first 2 shown]
.long 0xBF820045
.long 0xBF8C0F75
.long 0xD3B2401E, 0x1803011E
.long 0xBF8C0F74
.long 0xD3B2401E, 0x1803111E
	;; [unrolled: 2-line block ×6, first 2 shown]
.long 0xBF820032
.long 0xBF8C0F74
.long 0xD3B2401E, 0x1803011E
.long 0xBF8C0F73
.long 0xD3B2401E, 0x1803111E
	;; [unrolled: 2-line block ×5, first 2 shown]
.long 0xBF820022
.long 0xBF8C0F73
.long 0xD3B2401E, 0x1803011E
.long 0xBF8C0F72
.long 0xD3B2401E, 0x1803111E
	;; [unrolled: 2-line block ×4, first 2 shown]
.long 0xBF820015
.long 0xBF8C0F72
.long 0xD3B2401E, 0x1803011E
.long 0xBF8C0F71
.long 0xD3B2401E, 0x1803111E
	;; [unrolled: 2-line block ×3, first 2 shown]
.long 0xBF82000B
.long 0xBF8C0F71
.long 0xD3B2401E, 0x1803011E
.long 0xBF8C0F70
.long 0xD3B2401E, 0x1803111E
.long 0xBF820004
.long 0xBF8C0F70
.long 0xD3B2401E, 0x1803011E
.long 0xBF820000
.long 0x0A242430
	;; [unrolled: 1-line block ×9, first 2 shown]
.long 0xD0CC0038, 0x0001004A
.long 0xD1000010, 0x00E220F2
	;; [unrolled: 1-line block ×7, first 2 shown]
.long 0x7E241512
.long 0x7E261513
.long 0xD2A00012, 0x00022712
.long 0xE070D000, 0x80141207
.long 0xBF800000
.long 0xD0CC0038, 0x0001004A
.long 0xD1000010, 0x00E220F2
.long 0xD1000011, 0x00E222F2
.long 0xD3B14016, 0x18022D10
.long 0xD3A00016, 0x145A2831
.long 0xD3A01017, 0x145E2831
.long 0xD3B24016, 0x18022D0E
.long 0x7E2C1516
.long 0x7E2E1517
.long 0xD2A00016, 0x00022F16
.long 0x8E428128
.long 0x80504250
.long 0x82518051
.long 0xE070D000, 0x80141607
.long 0xBF800000
.long 0xD0CC0038, 0x0001004A
.long 0xD1000010, 0x00E220F2
.long 0xD1000011, 0x00E222F2
.long 0xD3B1401A, 0x18023510
.long 0xD3A0001A, 0x146A3031
.long 0xD3A0101B, 0x146E3031
.long 0xD3B2401A, 0x1802350E
.long 0x7E34151A
.long 0x7E36151B
.long 0xD2A0001A, 0x0002371A
.long 0x8E428128
.long 0x80504250
.long 0x82518051
	;; [unrolled: 15-line block ×3, first 2 shown]
.long 0xE070D000, 0x80141E07
.long 0xBF800000
.long 0xBF800000
	;; [unrolled: 1-line block ×3, first 2 shown]
.long 0x815684FF, 0x00016B60
.long 0x80545654
.long 0x82558055
	;; [unrolled: 1-line block ×3, first 2 shown]
.long 0xD1FE0008, 0x02060102
.long 0xE0501000, 0x80040C08
.long 0x924202FF, 0x00000080
.long 0xD1350009, 0x00008500
.long 0x24121282
.long 0xBF8CC07F
	;; [unrolled: 1-line block ×3, first 2 shown]
.long 0xD8EC0000, 0x0E000009
.long 0x24140082
.long 0xE0541000, 0x8012100A
.long 0x8E42812A
.long 0x80104210
.long 0x82118011
.long 0xE0501000, 0x80041408
.long 0x8E42812A
.long 0x80104210
	;; [unrolled: 4-line block ×3, first 2 shown]
.long 0x82118011
.long 0xE0501000, 0x80041C08
.long 0xD1FE0006, 0x020A0103
	;; [unrolled: 1-line block ×11, first 2 shown]
.long 0xBF800001
.long 0xE074D000, 0x80031206
.long 0x8E428228
.long 0x800C420C
.long 0x820D800D
.long 0xE074D000, 0x80031606
.long 0x8E428228
.long 0x800C420C
	;; [unrolled: 4-line block ×4, first 2 shown]
.long 0x92330454
.long 0x92411403
	;; [unrolled: 1-line block ×14, first 2 shown]
.long 0xC2330CCC, 0x00000000
.long 0x965B811C
.long 0x925A811C
	;; [unrolled: 1-line block ×15, first 2 shown]
.long 0x7E1602FF, 0x80000000
.long 0xBEDC0016
.long 0xBEDD0017
	;; [unrolled: 1-line block ×7, first 2 shown]
.long 0xE054D000, 0x80171206
.long 0xBE850032
.long 0x81858105
	;; [unrolled: 1-line block ×6, first 2 shown]
.long 0xE054D000, 0x80178006
.long 0x81858105
.long 0x805C565C
.long 0x825D575D
.long 0xBF008005
.long 0xBF850276
.long 0xE054D000, 0x80178806
.long 0x81858105
.long 0x805C565C
.long 0x825D575D
.long 0xBF008005
.long 0xBF850268
	;; [unrolled: 6-line block ×14, first 2 shown]
.long 0xE054D000, 0x8017F006
.long 0xBF8C0F7E
.long 0xD3B24012, 0x18030112
.long 0x81858105
.long 0xBF05CE05
.long 0xBF850217
.long 0x805C565C
.long 0x825D575D
.long 0xD0C60058, 0x00000A80
.long 0xD1000020, 0x01621706
.long 0xE054D000, 0x80178020
.long 0xBF8C0F7E
.long 0xD3B24012, 0x18031112
.long 0x81858105
.long 0xBF05CE05
.long 0xBF850209
.long 0x805C565C
.long 0x825D575D
.long 0xD0C60058, 0x00000A80
.long 0xD1000020, 0x01621706
	;; [unrolled: 10-line block ×15, first 2 shown]
.long 0xE054D000, 0x8017F020
.long 0xBF02CE05
.long 0xBF85FF2C
	;; [unrolled: 1-line block ×3, first 2 shown]
.long 0xD3B24012, 0x18030112
.long 0xBF8C0F7C
.long 0xD3B24012, 0x18031112
.long 0xBF8C0F7B
	;; [unrolled: 2-line block ×14, first 2 shown]
.long 0xBF8C0F7C
.long 0xD3B24012, 0x18030112
.long 0xBF8C0F7B
.long 0xD3B24012, 0x18031112
	;; [unrolled: 2-line block ×13, first 2 shown]
.long 0xBF8200F6
.long 0xBF8C0F7B
.long 0xD3B24012, 0x18030112
.long 0xBF8C0F7A
.long 0xD3B24012, 0x18031112
	;; [unrolled: 2-line block ×12, first 2 shown]
.long 0xBF8200D1
.long 0xBF8C0F7A
.long 0xD3B24012, 0x18030112
.long 0xBF8C0F79
.long 0xD3B24012, 0x18031112
	;; [unrolled: 2-line block ×11, first 2 shown]
.long 0xBF8200AF
.long 0xBF8C0F79
.long 0xD3B24012, 0x18030112
.long 0xBF8C0F78
.long 0xD3B24012, 0x18031112
	;; [unrolled: 2-line block ×10, first 2 shown]
.long 0xBF820090
.long 0xBF8C0F78
.long 0xD3B24012, 0x18030112
.long 0xBF8C0F77
.long 0xD3B24012, 0x18031112
	;; [unrolled: 2-line block ×9, first 2 shown]
.long 0xBF820074
.long 0xBF8C0F77
.long 0xD3B24012, 0x18030112
.long 0xBF8C0F76
.long 0xD3B24012, 0x18031112
	;; [unrolled: 2-line block ×8, first 2 shown]
.long 0xBF82005B
.long 0xBF8C0F76
.long 0xD3B24012, 0x18030112
.long 0xBF8C0F75
.long 0xD3B24012, 0x18031112
	;; [unrolled: 2-line block ×7, first 2 shown]
.long 0xBF820045
.long 0xBF8C0F75
.long 0xD3B24012, 0x18030112
.long 0xBF8C0F74
.long 0xD3B24012, 0x18031112
	;; [unrolled: 2-line block ×6, first 2 shown]
.long 0xBF820032
.long 0xBF8C0F74
.long 0xD3B24012, 0x18030112
.long 0xBF8C0F73
.long 0xD3B24012, 0x18031112
	;; [unrolled: 2-line block ×5, first 2 shown]
.long 0xBF820022
.long 0xBF8C0F73
.long 0xD3B24012, 0x18030112
.long 0xBF8C0F72
.long 0xD3B24012, 0x18031112
	;; [unrolled: 2-line block ×4, first 2 shown]
.long 0xBF820015
.long 0xBF8C0F72
.long 0xD3B24012, 0x18030112
.long 0xBF8C0F71
.long 0xD3B24012, 0x18031112
	;; [unrolled: 2-line block ×3, first 2 shown]
.long 0xBF82000B
.long 0xBF8C0F71
.long 0xD3B24012, 0x18030112
.long 0xBF8C0F70
.long 0xD3B24012, 0x18031112
.long 0xBF820004
.long 0xBF8C0F70
.long 0xD3B24012, 0x18030112
.long 0xBF820000
.long 0x7E1602FF, 0x80000000
.long 0xBEDC0016
.long 0xBEDD0017
	;; [unrolled: 1-line block ×9, first 2 shown]
.long 0xE054D000, 0x80171606
.long 0xBE850032
.long 0x81858105
.long 0x805C565C
.long 0x825D575D
.long 0xBF008005
.long 0xBF850281
.long 0xE054D000, 0x80178006
.long 0x81858105
.long 0x805C565C
.long 0x825D575D
.long 0xBF008005
.long 0xBF850276
.long 0xE054D000, 0x80178806
.long 0x81858105
.long 0x805C565C
.long 0x825D575D
.long 0xBF008005
.long 0xBF850268
	;; [unrolled: 6-line block ×14, first 2 shown]
.long 0xE054D000, 0x8017F006
.long 0xBF8C0F7E
.long 0xD3B24016, 0x18030116
.long 0x81858105
.long 0xBF05CE05
.long 0xBF850217
.long 0x805C565C
.long 0x825D575D
.long 0xD0C60058, 0x00000A80
.long 0xD1000020, 0x01621706
.long 0xE054D000, 0x80178020
.long 0xBF8C0F7E
.long 0xD3B24016, 0x18031116
.long 0x81858105
.long 0xBF05CE05
.long 0xBF850209
.long 0x805C565C
.long 0x825D575D
.long 0xD0C60058, 0x00000A80
.long 0xD1000020, 0x01621706
	;; [unrolled: 10-line block ×15, first 2 shown]
.long 0xE054D000, 0x8017F020
.long 0xBF02CE05
.long 0xBF85FF2C
	;; [unrolled: 1-line block ×3, first 2 shown]
.long 0xD3B24016, 0x18030116
.long 0xBF8C0F7C
.long 0xD3B24016, 0x18031116
.long 0xBF8C0F7B
	;; [unrolled: 2-line block ×14, first 2 shown]
.long 0xBF8C0F7C
.long 0xD3B24016, 0x18030116
.long 0xBF8C0F7B
.long 0xD3B24016, 0x18031116
	;; [unrolled: 2-line block ×13, first 2 shown]
.long 0xBF8200F6
.long 0xBF8C0F7B
.long 0xD3B24016, 0x18030116
.long 0xBF8C0F7A
.long 0xD3B24016, 0x18031116
	;; [unrolled: 2-line block ×12, first 2 shown]
.long 0xBF8200D1
.long 0xBF8C0F7A
.long 0xD3B24016, 0x18030116
.long 0xBF8C0F79
.long 0xD3B24016, 0x18031116
	;; [unrolled: 2-line block ×11, first 2 shown]
.long 0xBF8200AF
.long 0xBF8C0F79
.long 0xD3B24016, 0x18030116
.long 0xBF8C0F78
.long 0xD3B24016, 0x18031116
	;; [unrolled: 2-line block ×10, first 2 shown]
.long 0xBF820090
.long 0xBF8C0F78
.long 0xD3B24016, 0x18030116
.long 0xBF8C0F77
.long 0xD3B24016, 0x18031116
	;; [unrolled: 2-line block ×9, first 2 shown]
.long 0xBF820074
.long 0xBF8C0F77
.long 0xD3B24016, 0x18030116
.long 0xBF8C0F76
.long 0xD3B24016, 0x18031116
	;; [unrolled: 2-line block ×8, first 2 shown]
.long 0xBF82005B
.long 0xBF8C0F76
.long 0xD3B24016, 0x18030116
.long 0xBF8C0F75
.long 0xD3B24016, 0x18031116
	;; [unrolled: 2-line block ×7, first 2 shown]
.long 0xBF820045
.long 0xBF8C0F75
.long 0xD3B24016, 0x18030116
.long 0xBF8C0F74
.long 0xD3B24016, 0x18031116
	;; [unrolled: 2-line block ×6, first 2 shown]
.long 0xBF820032
.long 0xBF8C0F74
.long 0xD3B24016, 0x18030116
.long 0xBF8C0F73
.long 0xD3B24016, 0x18031116
	;; [unrolled: 2-line block ×5, first 2 shown]
.long 0xBF820022
.long 0xBF8C0F73
.long 0xD3B24016, 0x18030116
.long 0xBF8C0F72
.long 0xD3B24016, 0x18031116
	;; [unrolled: 2-line block ×4, first 2 shown]
.long 0xBF820015
.long 0xBF8C0F72
.long 0xD3B24016, 0x18030116
.long 0xBF8C0F71
.long 0xD3B24016, 0x18031116
	;; [unrolled: 2-line block ×3, first 2 shown]
.long 0xBF82000B
.long 0xBF8C0F71
.long 0xD3B24016, 0x18030116
.long 0xBF8C0F70
.long 0xD3B24016, 0x18031116
.long 0xBF820004
.long 0xBF8C0F70
.long 0xD3B24016, 0x18030116
.long 0xBF820000
.long 0x7E1602FF, 0x80000000
.long 0xBEDC0016
.long 0xBEDD0017
	;; [unrolled: 1-line block ×9, first 2 shown]
.long 0xE054D000, 0x80171A06
.long 0xBE850032
.long 0x81858105
.long 0x805C565C
.long 0x825D575D
.long 0xBF008005
.long 0xBF850281
.long 0xE054D000, 0x80178006
.long 0x81858105
.long 0x805C565C
.long 0x825D575D
.long 0xBF008005
.long 0xBF850276
.long 0xE054D000, 0x80178806
.long 0x81858105
.long 0x805C565C
.long 0x825D575D
.long 0xBF008005
.long 0xBF850268
	;; [unrolled: 6-line block ×14, first 2 shown]
.long 0xE054D000, 0x8017F006
.long 0xBF8C0F7E
.long 0xD3B2401A, 0x1803011A
.long 0x81858105
.long 0xBF05CE05
.long 0xBF850217
.long 0x805C565C
.long 0x825D575D
.long 0xD0C60058, 0x00000A80
.long 0xD1000020, 0x01621706
.long 0xE054D000, 0x80178020
.long 0xBF8C0F7E
.long 0xD3B2401A, 0x1803111A
.long 0x81858105
.long 0xBF05CE05
.long 0xBF850209
.long 0x805C565C
.long 0x825D575D
.long 0xD0C60058, 0x00000A80
.long 0xD1000020, 0x01621706
	;; [unrolled: 10-line block ×15, first 2 shown]
.long 0xE054D000, 0x8017F020
.long 0xBF02CE05
.long 0xBF85FF2C
	;; [unrolled: 1-line block ×3, first 2 shown]
.long 0xD3B2401A, 0x1803011A
.long 0xBF8C0F7C
.long 0xD3B2401A, 0x1803111A
.long 0xBF8C0F7B
	;; [unrolled: 2-line block ×14, first 2 shown]
.long 0xBF8C0F7C
.long 0xD3B2401A, 0x1803011A
.long 0xBF8C0F7B
.long 0xD3B2401A, 0x1803111A
	;; [unrolled: 2-line block ×13, first 2 shown]
.long 0xBF8200F6
.long 0xBF8C0F7B
.long 0xD3B2401A, 0x1803011A
.long 0xBF8C0F7A
.long 0xD3B2401A, 0x1803111A
	;; [unrolled: 2-line block ×12, first 2 shown]
.long 0xBF8200D1
.long 0xBF8C0F7A
.long 0xD3B2401A, 0x1803011A
.long 0xBF8C0F79
.long 0xD3B2401A, 0x1803111A
	;; [unrolled: 2-line block ×11, first 2 shown]
.long 0xBF8200AF
.long 0xBF8C0F79
.long 0xD3B2401A, 0x1803011A
.long 0xBF8C0F78
.long 0xD3B2401A, 0x1803111A
	;; [unrolled: 2-line block ×10, first 2 shown]
.long 0xBF820090
.long 0xBF8C0F78
.long 0xD3B2401A, 0x1803011A
.long 0xBF8C0F77
.long 0xD3B2401A, 0x1803111A
	;; [unrolled: 2-line block ×9, first 2 shown]
.long 0xBF820074
.long 0xBF8C0F77
.long 0xD3B2401A, 0x1803011A
.long 0xBF8C0F76
.long 0xD3B2401A, 0x1803111A
	;; [unrolled: 2-line block ×8, first 2 shown]
.long 0xBF82005B
.long 0xBF8C0F76
.long 0xD3B2401A, 0x1803011A
.long 0xBF8C0F75
.long 0xD3B2401A, 0x1803111A
	;; [unrolled: 2-line block ×7, first 2 shown]
.long 0xBF820045
.long 0xBF8C0F75
.long 0xD3B2401A, 0x1803011A
.long 0xBF8C0F74
.long 0xD3B2401A, 0x1803111A
	;; [unrolled: 2-line block ×6, first 2 shown]
.long 0xBF820032
.long 0xBF8C0F74
.long 0xD3B2401A, 0x1803011A
.long 0xBF8C0F73
.long 0xD3B2401A, 0x1803111A
	;; [unrolled: 2-line block ×5, first 2 shown]
.long 0xBF820022
.long 0xBF8C0F73
.long 0xD3B2401A, 0x1803011A
.long 0xBF8C0F72
.long 0xD3B2401A, 0x1803111A
	;; [unrolled: 2-line block ×4, first 2 shown]
.long 0xBF820015
.long 0xBF8C0F72
.long 0xD3B2401A, 0x1803011A
.long 0xBF8C0F71
.long 0xD3B2401A, 0x1803111A
	;; [unrolled: 2-line block ×3, first 2 shown]
.long 0xBF82000B
.long 0xBF8C0F71
.long 0xD3B2401A, 0x1803011A
.long 0xBF8C0F70
.long 0xD3B2401A, 0x1803111A
.long 0xBF820004
.long 0xBF8C0F70
.long 0xD3B2401A, 0x1803011A
.long 0xBF820000
.long 0x7E1602FF, 0x80000000
.long 0xBEDC0016
.long 0xBEDD0017
	;; [unrolled: 1-line block ×9, first 2 shown]
.long 0xE054D000, 0x80171E06
.long 0xBE850032
.long 0x81858105
.long 0x805C565C
.long 0x825D575D
.long 0xBF008005
.long 0xBF850281
.long 0xE054D000, 0x80178006
.long 0x81858105
.long 0x805C565C
.long 0x825D575D
.long 0xBF008005
.long 0xBF850276
.long 0xE054D000, 0x80178806
.long 0x81858105
.long 0x805C565C
.long 0x825D575D
.long 0xBF008005
.long 0xBF850268
	;; [unrolled: 6-line block ×14, first 2 shown]
.long 0xE054D000, 0x8017F006
.long 0xBF8C0F7E
.long 0xD3B2401E, 0x1803011E
.long 0x81858105
.long 0xBF05CE05
.long 0xBF850217
.long 0x805C565C
.long 0x825D575D
.long 0xD0C60058, 0x00000A80
.long 0xD1000020, 0x01621706
.long 0xE054D000, 0x80178020
.long 0xBF8C0F7E
.long 0xD3B2401E, 0x1803111E
.long 0x81858105
.long 0xBF05CE05
.long 0xBF850209
.long 0x805C565C
.long 0x825D575D
.long 0xD0C60058, 0x00000A80
.long 0xD1000020, 0x01621706
	;; [unrolled: 10-line block ×15, first 2 shown]
.long 0xE054D000, 0x8017F020
.long 0xBF02CE05
.long 0xBF85FF2C
	;; [unrolled: 1-line block ×3, first 2 shown]
.long 0xD3B2401E, 0x1803011E
.long 0xBF8C0F7C
.long 0xD3B2401E, 0x1803111E
.long 0xBF8C0F7B
	;; [unrolled: 2-line block ×14, first 2 shown]
.long 0xBF8C0F7C
.long 0xD3B2401E, 0x1803011E
.long 0xBF8C0F7B
.long 0xD3B2401E, 0x1803111E
	;; [unrolled: 2-line block ×13, first 2 shown]
.long 0xBF8200F6
.long 0xBF8C0F7B
.long 0xD3B2401E, 0x1803011E
.long 0xBF8C0F7A
.long 0xD3B2401E, 0x1803111E
	;; [unrolled: 2-line block ×12, first 2 shown]
.long 0xBF8200D1
.long 0xBF8C0F7A
.long 0xD3B2401E, 0x1803011E
.long 0xBF8C0F79
.long 0xD3B2401E, 0x1803111E
	;; [unrolled: 2-line block ×11, first 2 shown]
.long 0xBF8200AF
.long 0xBF8C0F79
.long 0xD3B2401E, 0x1803011E
.long 0xBF8C0F78
.long 0xD3B2401E, 0x1803111E
	;; [unrolled: 2-line block ×10, first 2 shown]
.long 0xBF820090
.long 0xBF8C0F78
.long 0xD3B2401E, 0x1803011E
.long 0xBF8C0F77
.long 0xD3B2401E, 0x1803111E
	;; [unrolled: 2-line block ×9, first 2 shown]
.long 0xBF820074
.long 0xBF8C0F77
.long 0xD3B2401E, 0x1803011E
.long 0xBF8C0F76
.long 0xD3B2401E, 0x1803111E
	;; [unrolled: 2-line block ×8, first 2 shown]
.long 0xBF82005B
.long 0xBF8C0F76
.long 0xD3B2401E, 0x1803011E
.long 0xBF8C0F75
.long 0xD3B2401E, 0x1803111E
	;; [unrolled: 2-line block ×7, first 2 shown]
.long 0xBF820045
.long 0xBF8C0F75
.long 0xD3B2401E, 0x1803011E
.long 0xBF8C0F74
.long 0xD3B2401E, 0x1803111E
	;; [unrolled: 2-line block ×6, first 2 shown]
.long 0xBF820032
.long 0xBF8C0F74
.long 0xD3B2401E, 0x1803011E
.long 0xBF8C0F73
.long 0xD3B2401E, 0x1803111E
	;; [unrolled: 2-line block ×5, first 2 shown]
.long 0xBF820022
.long 0xBF8C0F73
.long 0xD3B2401E, 0x1803011E
.long 0xBF8C0F72
.long 0xD3B2401E, 0x1803111E
	;; [unrolled: 2-line block ×4, first 2 shown]
.long 0xBF820015
.long 0xBF8C0F72
.long 0xD3B2401E, 0x1803011E
.long 0xBF8C0F71
.long 0xD3B2401E, 0x1803111E
	;; [unrolled: 2-line block ×3, first 2 shown]
.long 0xBF82000B
.long 0xBF8C0F71
.long 0xD3B2401E, 0x1803011E
.long 0xBF8C0F70
.long 0xD3B2401E, 0x1803111E
.long 0xBF820004
.long 0xBF8C0F70
.long 0xD3B2401E, 0x1803011E
.long 0xBF820000
.long 0x0A242430
	;; [unrolled: 1-line block ×9, first 2 shown]
.long 0xD0CC0038, 0x0001004A
.long 0xD1000010, 0x00E220F2
.long 0xD1000011, 0x00E222F2
.long 0xD3B14012, 0x18022510
.long 0xD3A00012, 0x144A1831
.long 0xD3A01013, 0x144E1831
.long 0xD3B24012, 0x1802250E
.long 0x262424FF, 0x7FFFFFFF
.long 0x262626FF, 0x7FFFFFFF
.long 0x7E241512
.long 0x7E261513
.long 0xD2A00012, 0x00022712
.long 0xE070D000, 0x80141207
.long 0xBF800000
.long 0xD0CC0038, 0x0001004A
.long 0xD1000010, 0x00E220F2
.long 0xD1000011, 0x00E222F2
.long 0xD3B14016, 0x18022D10
.long 0xD3A00016, 0x145A2831
.long 0xD3A01017, 0x145E2831
.long 0xD3B24016, 0x18022D0E
.long 0x262C2CFF, 0x7FFFFFFF
.long 0x262E2EFF, 0x7FFFFFFF
.long 0x7E2C1516
.long 0x7E2E1517
.long 0xD2A00016, 0x00022F16
.long 0x8E428128
.long 0x80504250
.long 0x82518051
.long 0xE070D000, 0x80141607
.long 0xBF800000
.long 0xD0CC0038, 0x0001004A
.long 0xD1000010, 0x00E220F2
.long 0xD1000011, 0x00E222F2
.long 0xD3B1401A, 0x18023510
.long 0xD3A0001A, 0x146A3031
.long 0xD3A0101B, 0x146E3031
.long 0xD3B2401A, 0x1802350E
.long 0x263434FF, 0x7FFFFFFF
.long 0x263636FF, 0x7FFFFFFF
.long 0x7E34151A
.long 0x7E36151B
.long 0xD2A0001A, 0x0002371A
.long 0x8E428128
.long 0x80504250
.long 0x82518051
	;; [unrolled: 17-line block ×3, first 2 shown]
.long 0xE070D000, 0x80141E07
.long 0xBF800000
.long 0xBF800000
	;; [unrolled: 1-line block ×3, first 2 shown]
.long 0x815684FF, 0x00013EA0
.long 0x80545654
.long 0x82558055
	;; [unrolled: 1-line block ×3, first 2 shown]
.long 0xD1FE0008, 0x02060102
.long 0xE0501000, 0x80040C08
	;; [unrolled: 1-line block ×4, first 2 shown]
.long 0x24121282
.long 0xBF8CC07F
	;; [unrolled: 1-line block ×3, first 2 shown]
.long 0xD8EC0000, 0x0E000009
.long 0x24140082
.long 0xE0541000, 0x8012100A
.long 0x8E42812A
.long 0x80104210
.long 0x82118011
.long 0xE0501000, 0x80041408
.long 0x8E42812A
.long 0x80104210
.long 0x82118011
.long 0xE0501000, 0x80041808
.long 0x8E42812A
.long 0x80104210
.long 0x82118011
.long 0xE0501000, 0x80041C08
.long 0xD1FE0006, 0x020A0103
	;; [unrolled: 1-line block ×11, first 2 shown]
.long 0xBF800001
.long 0xE074D000, 0x80031206
.long 0x8E428228
.long 0x800C420C
.long 0x820D800D
.long 0xE074D000, 0x80031606
.long 0x8E428228
.long 0x800C420C
	;; [unrolled: 4-line block ×4, first 2 shown]
.long 0x92330454
.long 0x92411403
	;; [unrolled: 1-line block ×14, first 2 shown]
.long 0xC2330CCC, 0x00000000
.long 0x965B811C
.long 0x925A811C
	;; [unrolled: 1-line block ×15, first 2 shown]
.long 0x7E1602FF, 0x80000000
.long 0xBEDC0016
.long 0xBEDD0017
	;; [unrolled: 1-line block ×7, first 2 shown]
.long 0xE054D000, 0x80171206
.long 0xBE850032
.long 0x81858105
	;; [unrolled: 1-line block ×6, first 2 shown]
.long 0xE054D000, 0x80178006
.long 0x81858105
.long 0x805C565C
.long 0x825D575D
.long 0xBF008005
.long 0xBF850276
.long 0xE054D000, 0x80178806
.long 0x81858105
.long 0x805C565C
.long 0x825D575D
.long 0xBF008005
.long 0xBF850268
.long 0xE054D000, 0x80179006
.long 0x81858105
.long 0x805C565C
.long 0x825D575D
.long 0xBF008005
.long 0xBF850257
.long 0xE054D000, 0x80179806
.long 0x81858105
.long 0x805C565C
.long 0x825D575D
.long 0xBF008005
.long 0xBF850243
.long 0xE054D000, 0x8017A006
.long 0x81858105
.long 0x805C565C
.long 0x825D575D
.long 0xBF008005
.long 0xBF85022C
.long 0xE054D000, 0x8017A806
.long 0x81858105
.long 0x805C565C
.long 0x825D575D
.long 0xBF008005
.long 0xBF850212
.long 0xE054D000, 0x8017B006
.long 0x81858105
.long 0x805C565C
.long 0x825D575D
.long 0xBF008005
.long 0xBF8501F5
.long 0xE054D000, 0x8017B806
.long 0x81858105
.long 0x805C565C
.long 0x825D575D
.long 0xBF008005
.long 0xBF8501D5
.long 0xE054D000, 0x8017C006
.long 0x81858105
.long 0x805C565C
.long 0x825D575D
.long 0xBF008005
.long 0xBF8501B2
.long 0xE054D000, 0x8017C806
.long 0x81858105
.long 0x805C565C
.long 0x825D575D
.long 0xBF008005
.long 0xBF85018C
.long 0xE054D000, 0x8017D006
.long 0x81858105
.long 0x805C565C
.long 0x825D575D
.long 0xBF008005
.long 0xBF850163
.long 0xE054D000, 0x8017D806
.long 0x81858105
.long 0x805C565C
.long 0x825D575D
.long 0xBF008005
.long 0xBF850137
.long 0xE054D000, 0x8017E006
.long 0x81858105
.long 0x805C565C
.long 0x825D575D
.long 0xBF008005
.long 0xBF850108
.long 0xE054D000, 0x8017E806
.long 0x81858105
.long 0x805C565C
.long 0x825D575D
.long 0xBF008005
.long 0xBF8500D6
.long 0xE054D000, 0x8017F006
.long 0xBF8C0F7E
.long 0xD3B24012, 0x18030112
.long 0x81858105
.long 0xBF05CE05
.long 0xBF850217
.long 0x805C565C
.long 0x825D575D
.long 0xD0C60058, 0x00000A80
.long 0xD1000020, 0x01621706
.long 0xE054D000, 0x80178020
.long 0xBF8C0F7E
.long 0xD3B24012, 0x18031112
.long 0x81858105
.long 0xBF05CE05
.long 0xBF850209
.long 0x805C565C
.long 0x825D575D
.long 0xD0C60058, 0x00000A80
.long 0xD1000020, 0x01621706
	;; [unrolled: 10-line block ×15, first 2 shown]
.long 0xE054D000, 0x8017F020
.long 0xBF02CE05
.long 0xBF85FF2C
	;; [unrolled: 1-line block ×3, first 2 shown]
.long 0xD3B24012, 0x18030112
.long 0xBF8C0F7C
.long 0xD3B24012, 0x18031112
.long 0xBF8C0F7B
	;; [unrolled: 2-line block ×14, first 2 shown]
.long 0xBF8C0F7C
.long 0xD3B24012, 0x18030112
.long 0xBF8C0F7B
.long 0xD3B24012, 0x18031112
	;; [unrolled: 2-line block ×13, first 2 shown]
.long 0xBF8200F6
.long 0xBF8C0F7B
.long 0xD3B24012, 0x18030112
.long 0xBF8C0F7A
.long 0xD3B24012, 0x18031112
	;; [unrolled: 2-line block ×12, first 2 shown]
.long 0xBF8200D1
.long 0xBF8C0F7A
.long 0xD3B24012, 0x18030112
.long 0xBF8C0F79
.long 0xD3B24012, 0x18031112
	;; [unrolled: 2-line block ×11, first 2 shown]
.long 0xBF8200AF
.long 0xBF8C0F79
.long 0xD3B24012, 0x18030112
.long 0xBF8C0F78
.long 0xD3B24012, 0x18031112
	;; [unrolled: 2-line block ×10, first 2 shown]
.long 0xBF820090
.long 0xBF8C0F78
.long 0xD3B24012, 0x18030112
.long 0xBF8C0F77
.long 0xD3B24012, 0x18031112
	;; [unrolled: 2-line block ×9, first 2 shown]
.long 0xBF820074
.long 0xBF8C0F77
.long 0xD3B24012, 0x18030112
.long 0xBF8C0F76
.long 0xD3B24012, 0x18031112
	;; [unrolled: 2-line block ×8, first 2 shown]
.long 0xBF82005B
.long 0xBF8C0F76
.long 0xD3B24012, 0x18030112
.long 0xBF8C0F75
.long 0xD3B24012, 0x18031112
	;; [unrolled: 2-line block ×7, first 2 shown]
.long 0xBF820045
.long 0xBF8C0F75
.long 0xD3B24012, 0x18030112
.long 0xBF8C0F74
.long 0xD3B24012, 0x18031112
	;; [unrolled: 2-line block ×6, first 2 shown]
.long 0xBF820032
.long 0xBF8C0F74
.long 0xD3B24012, 0x18030112
.long 0xBF8C0F73
.long 0xD3B24012, 0x18031112
	;; [unrolled: 2-line block ×5, first 2 shown]
.long 0xBF820022
.long 0xBF8C0F73
.long 0xD3B24012, 0x18030112
.long 0xBF8C0F72
.long 0xD3B24012, 0x18031112
.long 0xBF8C0F71
.long 0xD3B24012, 0x18032112
.long 0xBF8C0F70
.long 0xD3B24012, 0x18033112
.long 0xBF820015
.long 0xBF8C0F72
.long 0xD3B24012, 0x18030112
.long 0xBF8C0F71
.long 0xD3B24012, 0x18031112
	;; [unrolled: 2-line block ×3, first 2 shown]
.long 0xBF82000B
.long 0xBF8C0F71
.long 0xD3B24012, 0x18030112
.long 0xBF8C0F70
.long 0xD3B24012, 0x18031112
.long 0xBF820004
.long 0xBF8C0F70
.long 0xD3B24012, 0x18030112
.long 0xBF820000
.long 0x7E1602FF, 0x80000000
.long 0xBEDC0016
.long 0xBEDD0017
.long 0xBEDE000E
.long 0xBEDF000F
.long 0x8E588228
.long 0x805C585C
.long 0x825D805D
.long 0x80165816
.long 0x82178017
.long 0xE054D000, 0x80171606
.long 0xBE850032
.long 0x81858105
	;; [unrolled: 1-line block ×6, first 2 shown]
.long 0xE054D000, 0x80178006
.long 0x81858105
.long 0x805C565C
.long 0x825D575D
.long 0xBF008005
.long 0xBF850276
.long 0xE054D000, 0x80178806
.long 0x81858105
.long 0x805C565C
.long 0x825D575D
.long 0xBF008005
.long 0xBF850268
	;; [unrolled: 6-line block ×14, first 2 shown]
.long 0xE054D000, 0x8017F006
.long 0xBF8C0F7E
.long 0xD3B24016, 0x18030116
.long 0x81858105
.long 0xBF05CE05
.long 0xBF850217
.long 0x805C565C
.long 0x825D575D
.long 0xD0C60058, 0x00000A80
.long 0xD1000020, 0x01621706
.long 0xE054D000, 0x80178020
.long 0xBF8C0F7E
.long 0xD3B24016, 0x18031116
.long 0x81858105
.long 0xBF05CE05
.long 0xBF850209
.long 0x805C565C
.long 0x825D575D
.long 0xD0C60058, 0x00000A80
.long 0xD1000020, 0x01621706
	;; [unrolled: 10-line block ×15, first 2 shown]
.long 0xE054D000, 0x8017F020
.long 0xBF02CE05
.long 0xBF85FF2C
	;; [unrolled: 1-line block ×3, first 2 shown]
.long 0xD3B24016, 0x18030116
.long 0xBF8C0F7C
.long 0xD3B24016, 0x18031116
.long 0xBF8C0F7B
	;; [unrolled: 2-line block ×14, first 2 shown]
.long 0xBF8C0F7C
.long 0xD3B24016, 0x18030116
.long 0xBF8C0F7B
.long 0xD3B24016, 0x18031116
	;; [unrolled: 2-line block ×13, first 2 shown]
.long 0xBF8200F6
.long 0xBF8C0F7B
.long 0xD3B24016, 0x18030116
.long 0xBF8C0F7A
.long 0xD3B24016, 0x18031116
	;; [unrolled: 2-line block ×12, first 2 shown]
.long 0xBF8200D1
.long 0xBF8C0F7A
.long 0xD3B24016, 0x18030116
.long 0xBF8C0F79
.long 0xD3B24016, 0x18031116
.long 0xBF8C0F78
.long 0xD3B24016, 0x18032116
.long 0xBF8C0F77
.long 0xD3B24016, 0x18033116
.long 0xBF8C0F76
.long 0xD3B24016, 0x18034116
.long 0xBF8C0F75
.long 0xD3B24016, 0x18035116
.long 0xBF8C0F74
.long 0xD3B24016, 0x18036116
.long 0xBF8C0F73
.long 0xD3B24016, 0x18037116
.long 0xBF8C0F72
.long 0xD3B24016, 0x18038116
.long 0xBF8C0F71
.long 0xD3B24016, 0x18039116
.long 0xBF8C0F70
.long 0xD3B24016, 0x1803A116
.long 0xBF8200AF
.long 0xBF8C0F79
.long 0xD3B24016, 0x18030116
.long 0xBF8C0F78
.long 0xD3B24016, 0x18031116
	;; [unrolled: 2-line block ×10, first 2 shown]
.long 0xBF820090
.long 0xBF8C0F78
.long 0xD3B24016, 0x18030116
.long 0xBF8C0F77
.long 0xD3B24016, 0x18031116
	;; [unrolled: 2-line block ×9, first 2 shown]
.long 0xBF820074
.long 0xBF8C0F77
.long 0xD3B24016, 0x18030116
.long 0xBF8C0F76
.long 0xD3B24016, 0x18031116
.long 0xBF8C0F75
.long 0xD3B24016, 0x18032116
.long 0xBF8C0F74
.long 0xD3B24016, 0x18033116
.long 0xBF8C0F73
.long 0xD3B24016, 0x18034116
.long 0xBF8C0F72
.long 0xD3B24016, 0x18035116
.long 0xBF8C0F71
.long 0xD3B24016, 0x18036116
.long 0xBF8C0F70
.long 0xD3B24016, 0x18037116
.long 0xBF82005B
.long 0xBF8C0F76
.long 0xD3B24016, 0x18030116
.long 0xBF8C0F75
.long 0xD3B24016, 0x18031116
	;; [unrolled: 2-line block ×7, first 2 shown]
.long 0xBF820045
.long 0xBF8C0F75
.long 0xD3B24016, 0x18030116
.long 0xBF8C0F74
.long 0xD3B24016, 0x18031116
	;; [unrolled: 2-line block ×6, first 2 shown]
.long 0xBF820032
.long 0xBF8C0F74
.long 0xD3B24016, 0x18030116
.long 0xBF8C0F73
.long 0xD3B24016, 0x18031116
	;; [unrolled: 2-line block ×5, first 2 shown]
.long 0xBF820022
.long 0xBF8C0F73
.long 0xD3B24016, 0x18030116
.long 0xBF8C0F72
.long 0xD3B24016, 0x18031116
	;; [unrolled: 2-line block ×4, first 2 shown]
.long 0xBF820015
.long 0xBF8C0F72
.long 0xD3B24016, 0x18030116
.long 0xBF8C0F71
.long 0xD3B24016, 0x18031116
	;; [unrolled: 2-line block ×3, first 2 shown]
.long 0xBF82000B
.long 0xBF8C0F71
.long 0xD3B24016, 0x18030116
.long 0xBF8C0F70
.long 0xD3B24016, 0x18031116
.long 0xBF820004
.long 0xBF8C0F70
.long 0xD3B24016, 0x18030116
.long 0xBF820000
.long 0x7E1602FF, 0x80000000
.long 0xBEDC0016
.long 0xBEDD0017
	;; [unrolled: 1-line block ×9, first 2 shown]
.long 0xE054D000, 0x80171A06
.long 0xBE850032
.long 0x81858105
	;; [unrolled: 1-line block ×6, first 2 shown]
.long 0xE054D000, 0x80178006
.long 0x81858105
.long 0x805C565C
.long 0x825D575D
.long 0xBF008005
.long 0xBF850276
.long 0xE054D000, 0x80178806
.long 0x81858105
.long 0x805C565C
.long 0x825D575D
.long 0xBF008005
.long 0xBF850268
	;; [unrolled: 6-line block ×14, first 2 shown]
.long 0xE054D000, 0x8017F006
.long 0xBF8C0F7E
.long 0xD3B2401A, 0x1803011A
.long 0x81858105
.long 0xBF05CE05
.long 0xBF850217
.long 0x805C565C
.long 0x825D575D
.long 0xD0C60058, 0x00000A80
.long 0xD1000020, 0x01621706
.long 0xE054D000, 0x80178020
.long 0xBF8C0F7E
.long 0xD3B2401A, 0x1803111A
.long 0x81858105
.long 0xBF05CE05
.long 0xBF850209
.long 0x805C565C
.long 0x825D575D
.long 0xD0C60058, 0x00000A80
.long 0xD1000020, 0x01621706
	;; [unrolled: 10-line block ×15, first 2 shown]
.long 0xE054D000, 0x8017F020
.long 0xBF02CE05
.long 0xBF85FF2C
	;; [unrolled: 1-line block ×3, first 2 shown]
.long 0xD3B2401A, 0x1803011A
.long 0xBF8C0F7C
.long 0xD3B2401A, 0x1803111A
.long 0xBF8C0F7B
	;; [unrolled: 2-line block ×14, first 2 shown]
.long 0xBF8C0F7C
.long 0xD3B2401A, 0x1803011A
.long 0xBF8C0F7B
.long 0xD3B2401A, 0x1803111A
	;; [unrolled: 2-line block ×13, first 2 shown]
.long 0xBF8200F6
.long 0xBF8C0F7B
.long 0xD3B2401A, 0x1803011A
.long 0xBF8C0F7A
.long 0xD3B2401A, 0x1803111A
	;; [unrolled: 2-line block ×12, first 2 shown]
.long 0xBF8200D1
.long 0xBF8C0F7A
.long 0xD3B2401A, 0x1803011A
.long 0xBF8C0F79
.long 0xD3B2401A, 0x1803111A
	;; [unrolled: 2-line block ×11, first 2 shown]
.long 0xBF8200AF
.long 0xBF8C0F79
.long 0xD3B2401A, 0x1803011A
.long 0xBF8C0F78
.long 0xD3B2401A, 0x1803111A
	;; [unrolled: 2-line block ×10, first 2 shown]
.long 0xBF820090
.long 0xBF8C0F78
.long 0xD3B2401A, 0x1803011A
.long 0xBF8C0F77
.long 0xD3B2401A, 0x1803111A
	;; [unrolled: 2-line block ×9, first 2 shown]
.long 0xBF820074
.long 0xBF8C0F77
.long 0xD3B2401A, 0x1803011A
.long 0xBF8C0F76
.long 0xD3B2401A, 0x1803111A
	;; [unrolled: 2-line block ×8, first 2 shown]
.long 0xBF82005B
.long 0xBF8C0F76
.long 0xD3B2401A, 0x1803011A
.long 0xBF8C0F75
.long 0xD3B2401A, 0x1803111A
	;; [unrolled: 2-line block ×7, first 2 shown]
.long 0xBF820045
.long 0xBF8C0F75
.long 0xD3B2401A, 0x1803011A
.long 0xBF8C0F74
.long 0xD3B2401A, 0x1803111A
	;; [unrolled: 2-line block ×6, first 2 shown]
.long 0xBF820032
.long 0xBF8C0F74
.long 0xD3B2401A, 0x1803011A
.long 0xBF8C0F73
.long 0xD3B2401A, 0x1803111A
	;; [unrolled: 2-line block ×5, first 2 shown]
.long 0xBF820022
.long 0xBF8C0F73
.long 0xD3B2401A, 0x1803011A
.long 0xBF8C0F72
.long 0xD3B2401A, 0x1803111A
	;; [unrolled: 2-line block ×4, first 2 shown]
.long 0xBF820015
.long 0xBF8C0F72
.long 0xD3B2401A, 0x1803011A
.long 0xBF8C0F71
.long 0xD3B2401A, 0x1803111A
	;; [unrolled: 2-line block ×3, first 2 shown]
.long 0xBF82000B
.long 0xBF8C0F71
.long 0xD3B2401A, 0x1803011A
.long 0xBF8C0F70
.long 0xD3B2401A, 0x1803111A
.long 0xBF820004
.long 0xBF8C0F70
.long 0xD3B2401A, 0x1803011A
.long 0xBF820000
.long 0x7E1602FF, 0x80000000
.long 0xBEDC0016
.long 0xBEDD0017
	;; [unrolled: 1-line block ×9, first 2 shown]
.long 0xE054D000, 0x80171E06
.long 0xBE850032
.long 0x81858105
	;; [unrolled: 1-line block ×6, first 2 shown]
.long 0xE054D000, 0x80178006
.long 0x81858105
.long 0x805C565C
.long 0x825D575D
.long 0xBF008005
.long 0xBF850276
.long 0xE054D000, 0x80178806
.long 0x81858105
.long 0x805C565C
.long 0x825D575D
.long 0xBF008005
.long 0xBF850268
	;; [unrolled: 6-line block ×14, first 2 shown]
.long 0xE054D000, 0x8017F006
.long 0xBF8C0F7E
.long 0xD3B2401E, 0x1803011E
.long 0x81858105
.long 0xBF05CE05
.long 0xBF850217
.long 0x805C565C
.long 0x825D575D
.long 0xD0C60058, 0x00000A80
.long 0xD1000020, 0x01621706
.long 0xE054D000, 0x80178020
.long 0xBF8C0F7E
.long 0xD3B2401E, 0x1803111E
.long 0x81858105
.long 0xBF05CE05
.long 0xBF850209
.long 0x805C565C
.long 0x825D575D
.long 0xD0C60058, 0x00000A80
.long 0xD1000020, 0x01621706
	;; [unrolled: 10-line block ×15, first 2 shown]
.long 0xE054D000, 0x8017F020
.long 0xBF02CE05
.long 0xBF85FF2C
	;; [unrolled: 1-line block ×3, first 2 shown]
.long 0xD3B2401E, 0x1803011E
.long 0xBF8C0F7C
.long 0xD3B2401E, 0x1803111E
.long 0xBF8C0F7B
	;; [unrolled: 2-line block ×14, first 2 shown]
.long 0xBF8C0F7C
.long 0xD3B2401E, 0x1803011E
.long 0xBF8C0F7B
.long 0xD3B2401E, 0x1803111E
	;; [unrolled: 2-line block ×13, first 2 shown]
.long 0xBF8200F6
.long 0xBF8C0F7B
.long 0xD3B2401E, 0x1803011E
.long 0xBF8C0F7A
.long 0xD3B2401E, 0x1803111E
	;; [unrolled: 2-line block ×12, first 2 shown]
.long 0xBF8200D1
.long 0xBF8C0F7A
.long 0xD3B2401E, 0x1803011E
.long 0xBF8C0F79
.long 0xD3B2401E, 0x1803111E
	;; [unrolled: 2-line block ×11, first 2 shown]
.long 0xBF8200AF
.long 0xBF8C0F79
.long 0xD3B2401E, 0x1803011E
.long 0xBF8C0F78
.long 0xD3B2401E, 0x1803111E
	;; [unrolled: 2-line block ×10, first 2 shown]
.long 0xBF820090
.long 0xBF8C0F78
.long 0xD3B2401E, 0x1803011E
.long 0xBF8C0F77
.long 0xD3B2401E, 0x1803111E
	;; [unrolled: 2-line block ×9, first 2 shown]
.long 0xBF820074
.long 0xBF8C0F77
.long 0xD3B2401E, 0x1803011E
.long 0xBF8C0F76
.long 0xD3B2401E, 0x1803111E
	;; [unrolled: 2-line block ×8, first 2 shown]
.long 0xBF82005B
.long 0xBF8C0F76
.long 0xD3B2401E, 0x1803011E
.long 0xBF8C0F75
.long 0xD3B2401E, 0x1803111E
	;; [unrolled: 2-line block ×7, first 2 shown]
.long 0xBF820045
.long 0xBF8C0F75
.long 0xD3B2401E, 0x1803011E
.long 0xBF8C0F74
.long 0xD3B2401E, 0x1803111E
	;; [unrolled: 2-line block ×6, first 2 shown]
.long 0xBF820032
.long 0xBF8C0F74
.long 0xD3B2401E, 0x1803011E
.long 0xBF8C0F73
.long 0xD3B2401E, 0x1803111E
	;; [unrolled: 2-line block ×5, first 2 shown]
.long 0xBF820022
.long 0xBF8C0F73
.long 0xD3B2401E, 0x1803011E
.long 0xBF8C0F72
.long 0xD3B2401E, 0x1803111E
	;; [unrolled: 2-line block ×4, first 2 shown]
.long 0xBF820015
.long 0xBF8C0F72
.long 0xD3B2401E, 0x1803011E
.long 0xBF8C0F71
.long 0xD3B2401E, 0x1803111E
	;; [unrolled: 2-line block ×3, first 2 shown]
.long 0xBF82000B
.long 0xBF8C0F71
.long 0xD3B2401E, 0x1803011E
.long 0xBF8C0F70
.long 0xD3B2401E, 0x1803111E
.long 0xBF820004
.long 0xBF8C0F70
.long 0xD3B2401E, 0x1803011E
.long 0xBF820000
.long 0x0A242430
	;; [unrolled: 1-line block ×9, first 2 shown]
.long 0xD0CC0038, 0x0001004A
.long 0xD1000010, 0x00E220F2
	;; [unrolled: 1-line block ×8, first 2 shown]
.long 0x1424243F
.long 0x00242480
.long 0xD044006A, 0x00007D13
.long 0x1426263F
.long 0x00262680
	;; [unrolled: 1-line block ×4, first 2 shown]
.long 0xD2A00012, 0x00022712
.long 0xE070D000, 0x80141207
.long 0xBF800000
.long 0xD0CC0038, 0x0001004A
.long 0xD1000010, 0x00E220F2
.long 0xD1000011, 0x00E222F2
.long 0xD3B14016, 0x18022D10
.long 0xD3A00016, 0x145A2831
.long 0xD3A01017, 0x145E2831
.long 0xD3B24016, 0x18022D0E
.long 0xD044006A, 0x00007D16
.long 0x142C2C3F
.long 0x002C2C80
.long 0xD044006A, 0x00007D17
.long 0x142E2E3F
.long 0x002E2E80
.long 0x7E2C1516
.long 0x7E2E1517
.long 0xD2A00016, 0x00022F16
.long 0x8E428128
.long 0x80504250
.long 0x82518051
.long 0xE070D000, 0x80141607
.long 0xBF800000
.long 0xD0CC0038, 0x0001004A
.long 0xD1000010, 0x00E220F2
.long 0xD1000011, 0x00E222F2
.long 0xD3B1401A, 0x18023510
.long 0xD3A0001A, 0x146A3031
.long 0xD3A0101B, 0x146E3031
.long 0xD3B2401A, 0x1802350E
.long 0xD044006A, 0x00007D1A
.long 0x1434343F
.long 0x00343480
.long 0xD044006A, 0x00007D1B
.long 0x1436363F
.long 0x00363680
.long 0x7E34151A
.long 0x7E36151B
.long 0xD2A0001A, 0x0002371A
.long 0x8E428128
.long 0x80504250
.long 0x82518051
	;; [unrolled: 21-line block ×3, first 2 shown]
.long 0xE070D000, 0x80141E07
.long 0xBF800000
.long 0xBF800000
	;; [unrolled: 1-line block ×3, first 2 shown]
.long 0xD1FE0008, 0x02060102
.long 0xE0501000, 0x80040C08
	;; [unrolled: 1-line block ×4, first 2 shown]
.long 0x24121282
.long 0xBF8CC07F
	;; [unrolled: 1-line block ×3, first 2 shown]
.long 0xD8EC0000, 0x0E000009
.long 0x24140082
.long 0xE0541000, 0x8012100A
.long 0x8E42812A
.long 0x80104210
.long 0x82118011
.long 0xE0501000, 0x80041408
.long 0x8E42812A
.long 0x80104210
	;; [unrolled: 4-line block ×3, first 2 shown]
.long 0x82118011
.long 0xE0501000, 0x80041C08
.long 0xD1FE0006, 0x020A0103
	;; [unrolled: 1-line block ×11, first 2 shown]
.long 0xBF800001
.long 0xE074D000, 0x80031206
.long 0x8E428228
.long 0x800C420C
.long 0x820D800D
.long 0xE074D000, 0x80031606
.long 0x8E428228
.long 0x800C420C
	;; [unrolled: 4-line block ×4, first 2 shown]
.long 0x92330454
.long 0x92411403
	;; [unrolled: 1-line block ×14, first 2 shown]
.long 0xC2330CCC, 0x00000000
.long 0x965B811C
.long 0x925A811C
	;; [unrolled: 1-line block ×15, first 2 shown]
.long 0x7E1602FF, 0x80000000
.long 0xBEDC0016
.long 0xBEDD0017
	;; [unrolled: 1-line block ×7, first 2 shown]
.long 0xE054D000, 0x80171206
.long 0xBE850032
.long 0x81858105
	;; [unrolled: 1-line block ×6, first 2 shown]
.long 0xE054D000, 0x80178006
.long 0x81858105
.long 0x805C565C
.long 0x825D575D
.long 0xBF008005
.long 0xBF850276
.long 0xE054D000, 0x80178806
.long 0x81858105
.long 0x805C565C
.long 0x825D575D
.long 0xBF008005
.long 0xBF850268
	;; [unrolled: 6-line block ×14, first 2 shown]
.long 0xE054D000, 0x8017F006
.long 0xBF8C0F7E
.long 0xD3B24012, 0x18030112
.long 0x81858105
.long 0xBF05CE05
.long 0xBF850217
.long 0x805C565C
.long 0x825D575D
.long 0xD0C60058, 0x00000A80
.long 0xD1000020, 0x01621706
.long 0xE054D000, 0x80178020
.long 0xBF8C0F7E
.long 0xD3B24012, 0x18031112
.long 0x81858105
.long 0xBF05CE05
.long 0xBF850209
.long 0x805C565C
.long 0x825D575D
.long 0xD0C60058, 0x00000A80
.long 0xD1000020, 0x01621706
	;; [unrolled: 10-line block ×15, first 2 shown]
.long 0xE054D000, 0x8017F020
.long 0xBF02CE05
.long 0xBF85FF2C
.long 0xBF8C0F7D
.long 0xD3B24012, 0x18030112
.long 0xBF8C0F7C
.long 0xD3B24012, 0x18031112
.long 0xBF8C0F7B
	;; [unrolled: 2-line block ×14, first 2 shown]
.long 0xBF8C0F7C
.long 0xD3B24012, 0x18030112
.long 0xBF8C0F7B
.long 0xD3B24012, 0x18031112
	;; [unrolled: 2-line block ×13, first 2 shown]
.long 0xBF8200F6
.long 0xBF8C0F7B
.long 0xD3B24012, 0x18030112
.long 0xBF8C0F7A
.long 0xD3B24012, 0x18031112
	;; [unrolled: 2-line block ×12, first 2 shown]
.long 0xBF8200D1
.long 0xBF8C0F7A
.long 0xD3B24012, 0x18030112
.long 0xBF8C0F79
.long 0xD3B24012, 0x18031112
	;; [unrolled: 2-line block ×11, first 2 shown]
.long 0xBF8200AF
.long 0xBF8C0F79
.long 0xD3B24012, 0x18030112
.long 0xBF8C0F78
.long 0xD3B24012, 0x18031112
	;; [unrolled: 2-line block ×10, first 2 shown]
.long 0xBF820090
.long 0xBF8C0F78
.long 0xD3B24012, 0x18030112
.long 0xBF8C0F77
.long 0xD3B24012, 0x18031112
	;; [unrolled: 2-line block ×9, first 2 shown]
.long 0xBF820074
.long 0xBF8C0F77
.long 0xD3B24012, 0x18030112
.long 0xBF8C0F76
.long 0xD3B24012, 0x18031112
	;; [unrolled: 2-line block ×8, first 2 shown]
.long 0xBF82005B
.long 0xBF8C0F76
.long 0xD3B24012, 0x18030112
.long 0xBF8C0F75
.long 0xD3B24012, 0x18031112
	;; [unrolled: 2-line block ×7, first 2 shown]
.long 0xBF820045
.long 0xBF8C0F75
.long 0xD3B24012, 0x18030112
.long 0xBF8C0F74
.long 0xD3B24012, 0x18031112
	;; [unrolled: 2-line block ×6, first 2 shown]
.long 0xBF820032
.long 0xBF8C0F74
.long 0xD3B24012, 0x18030112
.long 0xBF8C0F73
.long 0xD3B24012, 0x18031112
	;; [unrolled: 2-line block ×5, first 2 shown]
.long 0xBF820022
.long 0xBF8C0F73
.long 0xD3B24012, 0x18030112
.long 0xBF8C0F72
.long 0xD3B24012, 0x18031112
	;; [unrolled: 2-line block ×4, first 2 shown]
.long 0xBF820015
.long 0xBF8C0F72
.long 0xD3B24012, 0x18030112
.long 0xBF8C0F71
.long 0xD3B24012, 0x18031112
.long 0xBF8C0F70
.long 0xD3B24012, 0x18032112
.long 0xBF82000B
.long 0xBF8C0F71
.long 0xD3B24012, 0x18030112
.long 0xBF8C0F70
.long 0xD3B24012, 0x18031112
.long 0xBF820004
.long 0xBF8C0F70
.long 0xD3B24012, 0x18030112
.long 0xBF820000
.long 0x7E1602FF, 0x80000000
.long 0xBEDC0016
.long 0xBEDD0017
	;; [unrolled: 1-line block ×9, first 2 shown]
.long 0xE054D000, 0x80171606
.long 0xBE850032
.long 0x81858105
	;; [unrolled: 1-line block ×6, first 2 shown]
.long 0xE054D000, 0x80178006
.long 0x81858105
.long 0x805C565C
.long 0x825D575D
.long 0xBF008005
.long 0xBF850276
.long 0xE054D000, 0x80178806
.long 0x81858105
.long 0x805C565C
.long 0x825D575D
.long 0xBF008005
.long 0xBF850268
	;; [unrolled: 6-line block ×14, first 2 shown]
.long 0xE054D000, 0x8017F006
.long 0xBF8C0F7E
.long 0xD3B24016, 0x18030116
.long 0x81858105
.long 0xBF05CE05
.long 0xBF850217
.long 0x805C565C
.long 0x825D575D
.long 0xD0C60058, 0x00000A80
.long 0xD1000020, 0x01621706
.long 0xE054D000, 0x80178020
.long 0xBF8C0F7E
.long 0xD3B24016, 0x18031116
.long 0x81858105
.long 0xBF05CE05
.long 0xBF850209
.long 0x805C565C
.long 0x825D575D
.long 0xD0C60058, 0x00000A80
.long 0xD1000020, 0x01621706
	;; [unrolled: 10-line block ×15, first 2 shown]
.long 0xE054D000, 0x8017F020
.long 0xBF02CE05
.long 0xBF85FF2C
	;; [unrolled: 1-line block ×3, first 2 shown]
.long 0xD3B24016, 0x18030116
.long 0xBF8C0F7C
.long 0xD3B24016, 0x18031116
.long 0xBF8C0F7B
	;; [unrolled: 2-line block ×14, first 2 shown]
.long 0xBF8C0F7C
.long 0xD3B24016, 0x18030116
.long 0xBF8C0F7B
.long 0xD3B24016, 0x18031116
.long 0xBF8C0F7A
.long 0xD3B24016, 0x18032116
.long 0xBF8C0F79
.long 0xD3B24016, 0x18033116
.long 0xBF8C0F78
.long 0xD3B24016, 0x18034116
.long 0xBF8C0F77
.long 0xD3B24016, 0x18035116
.long 0xBF8C0F76
.long 0xD3B24016, 0x18036116
.long 0xBF8C0F75
.long 0xD3B24016, 0x18037116
.long 0xBF8C0F74
.long 0xD3B24016, 0x18038116
.long 0xBF8C0F73
.long 0xD3B24016, 0x18039116
.long 0xBF8C0F72
.long 0xD3B24016, 0x1803A116
.long 0xBF8C0F71
.long 0xD3B24016, 0x1803B116
.long 0xBF8C0F70
.long 0xD3B24016, 0x1803C116
.long 0xBF8200F6
.long 0xBF8C0F7B
.long 0xD3B24016, 0x18030116
.long 0xBF8C0F7A
.long 0xD3B24016, 0x18031116
	;; [unrolled: 2-line block ×12, first 2 shown]
.long 0xBF8200D1
.long 0xBF8C0F7A
.long 0xD3B24016, 0x18030116
.long 0xBF8C0F79
.long 0xD3B24016, 0x18031116
	;; [unrolled: 2-line block ×11, first 2 shown]
.long 0xBF8200AF
.long 0xBF8C0F79
.long 0xD3B24016, 0x18030116
.long 0xBF8C0F78
.long 0xD3B24016, 0x18031116
	;; [unrolled: 2-line block ×10, first 2 shown]
.long 0xBF820090
.long 0xBF8C0F78
.long 0xD3B24016, 0x18030116
.long 0xBF8C0F77
.long 0xD3B24016, 0x18031116
	;; [unrolled: 2-line block ×9, first 2 shown]
.long 0xBF820074
.long 0xBF8C0F77
.long 0xD3B24016, 0x18030116
.long 0xBF8C0F76
.long 0xD3B24016, 0x18031116
	;; [unrolled: 2-line block ×8, first 2 shown]
.long 0xBF82005B
.long 0xBF8C0F76
.long 0xD3B24016, 0x18030116
.long 0xBF8C0F75
.long 0xD3B24016, 0x18031116
	;; [unrolled: 2-line block ×7, first 2 shown]
.long 0xBF820045
.long 0xBF8C0F75
.long 0xD3B24016, 0x18030116
.long 0xBF8C0F74
.long 0xD3B24016, 0x18031116
	;; [unrolled: 2-line block ×6, first 2 shown]
.long 0xBF820032
.long 0xBF8C0F74
.long 0xD3B24016, 0x18030116
.long 0xBF8C0F73
.long 0xD3B24016, 0x18031116
	;; [unrolled: 2-line block ×5, first 2 shown]
.long 0xBF820022
.long 0xBF8C0F73
.long 0xD3B24016, 0x18030116
.long 0xBF8C0F72
.long 0xD3B24016, 0x18031116
	;; [unrolled: 2-line block ×4, first 2 shown]
.long 0xBF820015
.long 0xBF8C0F72
.long 0xD3B24016, 0x18030116
.long 0xBF8C0F71
.long 0xD3B24016, 0x18031116
	;; [unrolled: 2-line block ×3, first 2 shown]
.long 0xBF82000B
.long 0xBF8C0F71
.long 0xD3B24016, 0x18030116
.long 0xBF8C0F70
.long 0xD3B24016, 0x18031116
.long 0xBF820004
.long 0xBF8C0F70
.long 0xD3B24016, 0x18030116
.long 0xBF820000
.long 0x7E1602FF, 0x80000000
.long 0xBEDC0016
.long 0xBEDD0017
	;; [unrolled: 1-line block ×9, first 2 shown]
.long 0xE054D000, 0x80171A06
.long 0xBE850032
.long 0x81858105
.long 0x805C565C
.long 0x825D575D
.long 0xBF008005
.long 0xBF850281
.long 0xE054D000, 0x80178006
.long 0x81858105
.long 0x805C565C
.long 0x825D575D
.long 0xBF008005
.long 0xBF850276
.long 0xE054D000, 0x80178806
.long 0x81858105
.long 0x805C565C
.long 0x825D575D
.long 0xBF008005
.long 0xBF850268
.long 0xE054D000, 0x80179006
.long 0x81858105
.long 0x805C565C
.long 0x825D575D
.long 0xBF008005
.long 0xBF850257
.long 0xE054D000, 0x80179806
.long 0x81858105
.long 0x805C565C
.long 0x825D575D
.long 0xBF008005
.long 0xBF850243
.long 0xE054D000, 0x8017A006
.long 0x81858105
.long 0x805C565C
.long 0x825D575D
.long 0xBF008005
.long 0xBF85022C
.long 0xE054D000, 0x8017A806
.long 0x81858105
.long 0x805C565C
.long 0x825D575D
.long 0xBF008005
.long 0xBF850212
.long 0xE054D000, 0x8017B006
.long 0x81858105
.long 0x805C565C
.long 0x825D575D
.long 0xBF008005
.long 0xBF8501F5
.long 0xE054D000, 0x8017B806
.long 0x81858105
.long 0x805C565C
.long 0x825D575D
.long 0xBF008005
.long 0xBF8501D5
.long 0xE054D000, 0x8017C006
.long 0x81858105
.long 0x805C565C
.long 0x825D575D
.long 0xBF008005
.long 0xBF8501B2
.long 0xE054D000, 0x8017C806
.long 0x81858105
.long 0x805C565C
.long 0x825D575D
.long 0xBF008005
.long 0xBF85018C
.long 0xE054D000, 0x8017D006
.long 0x81858105
.long 0x805C565C
.long 0x825D575D
.long 0xBF008005
.long 0xBF850163
.long 0xE054D000, 0x8017D806
.long 0x81858105
.long 0x805C565C
.long 0x825D575D
.long 0xBF008005
.long 0xBF850137
.long 0xE054D000, 0x8017E006
.long 0x81858105
.long 0x805C565C
.long 0x825D575D
.long 0xBF008005
.long 0xBF850108
.long 0xE054D000, 0x8017E806
.long 0x81858105
.long 0x805C565C
.long 0x825D575D
.long 0xBF008005
.long 0xBF8500D6
.long 0xE054D000, 0x8017F006
.long 0xBF8C0F7E
.long 0xD3B2401A, 0x1803011A
.long 0x81858105
.long 0xBF05CE05
.long 0xBF850217
.long 0x805C565C
.long 0x825D575D
.long 0xD0C60058, 0x00000A80
.long 0xD1000020, 0x01621706
.long 0xE054D000, 0x80178020
.long 0xBF8C0F7E
.long 0xD3B2401A, 0x1803111A
.long 0x81858105
.long 0xBF05CE05
.long 0xBF850209
.long 0x805C565C
.long 0x825D575D
.long 0xD0C60058, 0x00000A80
.long 0xD1000020, 0x01621706
	;; [unrolled: 10-line block ×15, first 2 shown]
.long 0xE054D000, 0x8017F020
.long 0xBF02CE05
.long 0xBF85FF2C
	;; [unrolled: 1-line block ×3, first 2 shown]
.long 0xD3B2401A, 0x1803011A
.long 0xBF8C0F7C
.long 0xD3B2401A, 0x1803111A
.long 0xBF8C0F7B
	;; [unrolled: 2-line block ×14, first 2 shown]
.long 0xBF8C0F7C
.long 0xD3B2401A, 0x1803011A
.long 0xBF8C0F7B
.long 0xD3B2401A, 0x1803111A
	;; [unrolled: 2-line block ×13, first 2 shown]
.long 0xBF8200F6
.long 0xBF8C0F7B
.long 0xD3B2401A, 0x1803011A
.long 0xBF8C0F7A
.long 0xD3B2401A, 0x1803111A
	;; [unrolled: 2-line block ×12, first 2 shown]
.long 0xBF8200D1
.long 0xBF8C0F7A
.long 0xD3B2401A, 0x1803011A
.long 0xBF8C0F79
.long 0xD3B2401A, 0x1803111A
	;; [unrolled: 2-line block ×11, first 2 shown]
.long 0xBF8200AF
.long 0xBF8C0F79
.long 0xD3B2401A, 0x1803011A
.long 0xBF8C0F78
.long 0xD3B2401A, 0x1803111A
	;; [unrolled: 2-line block ×10, first 2 shown]
.long 0xBF820090
.long 0xBF8C0F78
.long 0xD3B2401A, 0x1803011A
.long 0xBF8C0F77
.long 0xD3B2401A, 0x1803111A
	;; [unrolled: 2-line block ×9, first 2 shown]
.long 0xBF820074
.long 0xBF8C0F77
.long 0xD3B2401A, 0x1803011A
.long 0xBF8C0F76
.long 0xD3B2401A, 0x1803111A
	;; [unrolled: 2-line block ×8, first 2 shown]
.long 0xBF82005B
.long 0xBF8C0F76
.long 0xD3B2401A, 0x1803011A
.long 0xBF8C0F75
.long 0xD3B2401A, 0x1803111A
	;; [unrolled: 2-line block ×7, first 2 shown]
.long 0xBF820045
.long 0xBF8C0F75
.long 0xD3B2401A, 0x1803011A
.long 0xBF8C0F74
.long 0xD3B2401A, 0x1803111A
	;; [unrolled: 2-line block ×6, first 2 shown]
.long 0xBF820032
.long 0xBF8C0F74
.long 0xD3B2401A, 0x1803011A
.long 0xBF8C0F73
.long 0xD3B2401A, 0x1803111A
	;; [unrolled: 2-line block ×5, first 2 shown]
.long 0xBF820022
.long 0xBF8C0F73
.long 0xD3B2401A, 0x1803011A
.long 0xBF8C0F72
.long 0xD3B2401A, 0x1803111A
	;; [unrolled: 2-line block ×4, first 2 shown]
.long 0xBF820015
.long 0xBF8C0F72
.long 0xD3B2401A, 0x1803011A
.long 0xBF8C0F71
.long 0xD3B2401A, 0x1803111A
	;; [unrolled: 2-line block ×3, first 2 shown]
.long 0xBF82000B
.long 0xBF8C0F71
.long 0xD3B2401A, 0x1803011A
.long 0xBF8C0F70
.long 0xD3B2401A, 0x1803111A
.long 0xBF820004
.long 0xBF8C0F70
.long 0xD3B2401A, 0x1803011A
.long 0xBF820000
.long 0x7E1602FF, 0x80000000
.long 0xBEDC0016
.long 0xBEDD0017
	;; [unrolled: 1-line block ×9, first 2 shown]
.long 0xE054D000, 0x80171E06
.long 0xBE850032
.long 0x81858105
	;; [unrolled: 1-line block ×6, first 2 shown]
.long 0xE054D000, 0x80178006
.long 0x81858105
.long 0x805C565C
.long 0x825D575D
.long 0xBF008005
.long 0xBF850276
.long 0xE054D000, 0x80178806
.long 0x81858105
.long 0x805C565C
.long 0x825D575D
.long 0xBF008005
.long 0xBF850268
.long 0xE054D000, 0x80179006
.long 0x81858105
.long 0x805C565C
.long 0x825D575D
.long 0xBF008005
.long 0xBF850257
.long 0xE054D000, 0x80179806
.long 0x81858105
.long 0x805C565C
.long 0x825D575D
.long 0xBF008005
.long 0xBF850243
.long 0xE054D000, 0x8017A006
.long 0x81858105
.long 0x805C565C
.long 0x825D575D
.long 0xBF008005
.long 0xBF85022C
.long 0xE054D000, 0x8017A806
.long 0x81858105
.long 0x805C565C
.long 0x825D575D
.long 0xBF008005
.long 0xBF850212
.long 0xE054D000, 0x8017B006
.long 0x81858105
.long 0x805C565C
.long 0x825D575D
.long 0xBF008005
.long 0xBF8501F5
.long 0xE054D000, 0x8017B806
.long 0x81858105
.long 0x805C565C
.long 0x825D575D
.long 0xBF008005
.long 0xBF8501D5
.long 0xE054D000, 0x8017C006
.long 0x81858105
.long 0x805C565C
.long 0x825D575D
.long 0xBF008005
.long 0xBF8501B2
.long 0xE054D000, 0x8017C806
.long 0x81858105
.long 0x805C565C
.long 0x825D575D
.long 0xBF008005
.long 0xBF85018C
.long 0xE054D000, 0x8017D006
.long 0x81858105
.long 0x805C565C
.long 0x825D575D
.long 0xBF008005
.long 0xBF850163
.long 0xE054D000, 0x8017D806
.long 0x81858105
.long 0x805C565C
.long 0x825D575D
.long 0xBF008005
.long 0xBF850137
.long 0xE054D000, 0x8017E006
.long 0x81858105
.long 0x805C565C
.long 0x825D575D
.long 0xBF008005
.long 0xBF850108
.long 0xE054D000, 0x8017E806
.long 0x81858105
.long 0x805C565C
.long 0x825D575D
.long 0xBF008005
.long 0xBF8500D6
.long 0xE054D000, 0x8017F006
.long 0xBF8C0F7E
.long 0xD3B2401E, 0x1803011E
.long 0x81858105
.long 0xBF05CE05
.long 0xBF850217
.long 0x805C565C
.long 0x825D575D
.long 0xD0C60058, 0x00000A80
.long 0xD1000020, 0x01621706
.long 0xE054D000, 0x80178020
.long 0xBF8C0F7E
.long 0xD3B2401E, 0x1803111E
.long 0x81858105
.long 0xBF05CE05
.long 0xBF850209
.long 0x805C565C
.long 0x825D575D
.long 0xD0C60058, 0x00000A80
.long 0xD1000020, 0x01621706
	;; [unrolled: 10-line block ×15, first 2 shown]
.long 0xE054D000, 0x8017F020
.long 0xBF02CE05
.long 0xBF85FF2C
	;; [unrolled: 1-line block ×3, first 2 shown]
.long 0xD3B2401E, 0x1803011E
.long 0xBF8C0F7C
.long 0xD3B2401E, 0x1803111E
.long 0xBF8C0F7B
	;; [unrolled: 2-line block ×14, first 2 shown]
.long 0xBF8C0F7C
.long 0xD3B2401E, 0x1803011E
.long 0xBF8C0F7B
.long 0xD3B2401E, 0x1803111E
	;; [unrolled: 2-line block ×13, first 2 shown]
.long 0xBF8200F6
.long 0xBF8C0F7B
.long 0xD3B2401E, 0x1803011E
.long 0xBF8C0F7A
.long 0xD3B2401E, 0x1803111E
	;; [unrolled: 2-line block ×12, first 2 shown]
.long 0xBF8200D1
.long 0xBF8C0F7A
.long 0xD3B2401E, 0x1803011E
.long 0xBF8C0F79
.long 0xD3B2401E, 0x1803111E
	;; [unrolled: 2-line block ×11, first 2 shown]
.long 0xBF8200AF
.long 0xBF8C0F79
.long 0xD3B2401E, 0x1803011E
.long 0xBF8C0F78
.long 0xD3B2401E, 0x1803111E
	;; [unrolled: 2-line block ×10, first 2 shown]
.long 0xBF820090
.long 0xBF8C0F78
.long 0xD3B2401E, 0x1803011E
.long 0xBF8C0F77
.long 0xD3B2401E, 0x1803111E
.long 0xBF8C0F76
.long 0xD3B2401E, 0x1803211E
.long 0xBF8C0F75
.long 0xD3B2401E, 0x1803311E
.long 0xBF8C0F74
.long 0xD3B2401E, 0x1803411E
.long 0xBF8C0F73
.long 0xD3B2401E, 0x1803511E
.long 0xBF8C0F72
.long 0xD3B2401E, 0x1803611E
.long 0xBF8C0F71
.long 0xD3B2401E, 0x1803711E
.long 0xBF8C0F70
.long 0xD3B2401E, 0x1803811E
.long 0xBF820074
.long 0xBF8C0F77
.long 0xD3B2401E, 0x1803011E
.long 0xBF8C0F76
.long 0xD3B2401E, 0x1803111E
	;; [unrolled: 2-line block ×8, first 2 shown]
.long 0xBF82005B
.long 0xBF8C0F76
.long 0xD3B2401E, 0x1803011E
.long 0xBF8C0F75
.long 0xD3B2401E, 0x1803111E
	;; [unrolled: 2-line block ×7, first 2 shown]
.long 0xBF820045
.long 0xBF8C0F75
.long 0xD3B2401E, 0x1803011E
.long 0xBF8C0F74
.long 0xD3B2401E, 0x1803111E
	;; [unrolled: 2-line block ×6, first 2 shown]
.long 0xBF820032
.long 0xBF8C0F74
.long 0xD3B2401E, 0x1803011E
.long 0xBF8C0F73
.long 0xD3B2401E, 0x1803111E
	;; [unrolled: 2-line block ×5, first 2 shown]
.long 0xBF820022
.long 0xBF8C0F73
.long 0xD3B2401E, 0x1803011E
.long 0xBF8C0F72
.long 0xD3B2401E, 0x1803111E
	;; [unrolled: 2-line block ×4, first 2 shown]
.long 0xBF820015
.long 0xBF8C0F72
.long 0xD3B2401E, 0x1803011E
.long 0xBF8C0F71
.long 0xD3B2401E, 0x1803111E
	;; [unrolled: 2-line block ×3, first 2 shown]
.long 0xBF82000B
.long 0xBF8C0F71
.long 0xD3B2401E, 0x1803011E
.long 0xBF8C0F70
.long 0xD3B2401E, 0x1803111E
.long 0xBF820004
.long 0xBF8C0F70
.long 0xD3B2401E, 0x1803011E
.long 0xBF820000
.long 0x0A242430
	;; [unrolled: 1-line block ×9, first 2 shown]
.long 0xD0CC0038, 0x0001004A
.long 0xD1000010, 0x00E220F2
	;; [unrolled: 1-line block ×9, first 2 shown]
.long 0x0A080912
.long 0x0A0808FF, 0x40135761
.long 0x7E084104
.long 0xBF800000
	;; [unrolled: 1-line block ×5, first 2 shown]
.long 0xD1CB0004, 0x03D208F5
.long 0x0A080912
.long 0x0A2408F0
.long 0x0A0826FF, 0x3D372713
.long 0xD1CB0004, 0x03CA0913
.long 0x0A080913
.long 0x0A0808FF, 0x40135761
.long 0x7E084104
.long 0xBF800000
	;; [unrolled: 1-line block ×5, first 2 shown]
.long 0xD1CB0004, 0x03D208F5
.long 0x0A080913
.long 0x0A2608F0
	;; [unrolled: 1-line block ×4, first 2 shown]
.long 0xD2A00012, 0x00022712
.long 0xE070D000, 0x80141207
.long 0xBF800000
.long 0xD0CC0038, 0x0001004A
.long 0xD1000010, 0x00E220F2
.long 0xD1000011, 0x00E222F2
.long 0xD3B14016, 0x18022D10
.long 0xD3A00016, 0x145A2831
.long 0xD3A01017, 0x145E2831
.long 0xD3B24016, 0x18022D0E
.long 0x0A082CFF, 0x3D372713
.long 0xD1CB0004, 0x03CA0916
.long 0x0A080916
.long 0x0A0808FF, 0x40135761
.long 0x7E084104
.long 0xBF800000
.long 0x020808F2
.long 0x7E084504
.long 0xBF800000
.long 0xD1CB0004, 0x03D208F5
.long 0x0A080916
.long 0x0A2C08F0
.long 0x0A082EFF, 0x3D372713
.long 0xD1CB0004, 0x03CA0917
.long 0x0A080917
.long 0x0A0808FF, 0x40135761
.long 0x7E084104
.long 0xBF800000
.long 0x020808F2
.long 0x7E084504
.long 0xBF800000
.long 0xD1CB0004, 0x03D208F5
.long 0x0A080917
.long 0x0A2E08F0
.long 0x7E2C1516
.long 0x7E2E1517
.long 0xD2A00016, 0x00022F16
.long 0x8E428128
.long 0x80504250
.long 0x82518051
.long 0xE070D000, 0x80141607
.long 0xBF800000
.long 0xD0CC0038, 0x0001004A
.long 0xD1000010, 0x00E220F2
.long 0xD1000011, 0x00E222F2
.long 0xD3B1401A, 0x18023510
.long 0xD3A0001A, 0x146A3031
.long 0xD3A0101B, 0x146E3031
.long 0xD3B2401A, 0x1802350E
.long 0x0A0834FF, 0x3D372713
.long 0xD1CB0004, 0x03CA091A
.long 0x0A08091A
.long 0x0A0808FF, 0x40135761
.long 0x7E084104
.long 0xBF800000
.long 0x020808F2
.long 0x7E084504
.long 0xBF800000
.long 0xD1CB0004, 0x03D208F5
.long 0x0A08091A
.long 0x0A3408F0
.long 0x0A0836FF, 0x3D372713
.long 0xD1CB0004, 0x03CA091B
.long 0x0A08091B
.long 0x0A0808FF, 0x40135761
.long 0x7E084104
.long 0xBF800000
.long 0x020808F2
.long 0x7E084504
.long 0xBF800000
.long 0xD1CB0004, 0x03D208F5
.long 0x0A08091B
.long 0x0A3608F0
.long 0x7E34151A
.long 0x7E36151B
.long 0xD2A0001A, 0x0002371A
.long 0x8E428128
.long 0x80504250
.long 0x82518051
	;; [unrolled: 39-line block ×3, first 2 shown]
.long 0xE070D000, 0x80141E07
.long 0xBF800000
.long 0xBF800000
	;; [unrolled: 1-line block ×3, first 2 shown]
.long 0xD1FE0008, 0x02060102
.long 0xE0501000, 0x80040C08
	;; [unrolled: 1-line block ×4, first 2 shown]
.long 0x24121282
.long 0xBF8CC07F
	;; [unrolled: 1-line block ×3, first 2 shown]
.long 0xD8EC0000, 0x0E000009
.long 0x24140082
.long 0xE0541000, 0x8012100A
.long 0x8E42812A
.long 0x80104210
.long 0x82118011
.long 0xE0501000, 0x80041408
.long 0x8E42812A
.long 0x80104210
.long 0x82118011
.long 0xE0501000, 0x80041808
.long 0x8E42812A
.long 0x80104210
.long 0x82118011
.long 0xE0501000, 0x80041C08
.long 0xD1FE0006, 0x020A0103
.long 0xD1FE0007, 0x02060103
.long 0xD3D84012, 0x18000100
.long 0xD3D84013, 0x18000104
.long 0xD3D84016, 0x18000101
.long 0xD3D84017, 0x18000105
.long 0xD3D8401A, 0x18000102
.long 0xD3D8401B, 0x18000106
.long 0xD3D8401E, 0x18000103
.long 0xD3D8401F, 0x18000107
.long 0xBF800001
.long 0xE074D000, 0x80031206
.long 0x8E428228
.long 0x800C420C
.long 0x820D800D
.long 0xE074D000, 0x80031606
.long 0x8E428228
.long 0x800C420C
	;; [unrolled: 4-line block ×4, first 2 shown]
.long 0x92330454
.long 0x92411403
	;; [unrolled: 1-line block ×14, first 2 shown]
.long 0xC2330CCC, 0x00000000
.long 0x965B811C
.long 0x925A811C
	;; [unrolled: 1-line block ×15, first 2 shown]
.long 0x7E1602FF, 0x80000000
.long 0xBEDC0016
.long 0xBEDD0017
	;; [unrolled: 1-line block ×7, first 2 shown]
.long 0xE054D000, 0x80171206
.long 0xBE850032
.long 0x81858105
	;; [unrolled: 1-line block ×6, first 2 shown]
.long 0xE054D000, 0x80178006
.long 0x81858105
.long 0x805C565C
.long 0x825D575D
.long 0xBF008005
.long 0xBF850276
.long 0xE054D000, 0x80178806
.long 0x81858105
.long 0x805C565C
.long 0x825D575D
.long 0xBF008005
.long 0xBF850268
	;; [unrolled: 6-line block ×14, first 2 shown]
.long 0xE054D000, 0x8017F006
.long 0xBF8C0F7E
.long 0xD3B24012, 0x18030112
.long 0x81858105
.long 0xBF05CE05
.long 0xBF850217
.long 0x805C565C
.long 0x825D575D
.long 0xD0C60058, 0x00000A80
.long 0xD1000020, 0x01621706
.long 0xE054D000, 0x80178020
.long 0xBF8C0F7E
.long 0xD3B24012, 0x18031112
.long 0x81858105
.long 0xBF05CE05
.long 0xBF850209
.long 0x805C565C
.long 0x825D575D
.long 0xD0C60058, 0x00000A80
.long 0xD1000020, 0x01621706
	;; [unrolled: 10-line block ×15, first 2 shown]
.long 0xE054D000, 0x8017F020
.long 0xBF02CE05
.long 0xBF85FF2C
	;; [unrolled: 1-line block ×3, first 2 shown]
.long 0xD3B24012, 0x18030112
.long 0xBF8C0F7C
.long 0xD3B24012, 0x18031112
.long 0xBF8C0F7B
	;; [unrolled: 2-line block ×14, first 2 shown]
.long 0xBF8C0F7C
.long 0xD3B24012, 0x18030112
.long 0xBF8C0F7B
.long 0xD3B24012, 0x18031112
	;; [unrolled: 2-line block ×13, first 2 shown]
.long 0xBF8200F6
.long 0xBF8C0F7B
.long 0xD3B24012, 0x18030112
.long 0xBF8C0F7A
.long 0xD3B24012, 0x18031112
	;; [unrolled: 2-line block ×12, first 2 shown]
.long 0xBF8200D1
.long 0xBF8C0F7A
.long 0xD3B24012, 0x18030112
.long 0xBF8C0F79
.long 0xD3B24012, 0x18031112
	;; [unrolled: 2-line block ×11, first 2 shown]
.long 0xBF8200AF
.long 0xBF8C0F79
.long 0xD3B24012, 0x18030112
.long 0xBF8C0F78
.long 0xD3B24012, 0x18031112
.long 0xBF8C0F77
.long 0xD3B24012, 0x18032112
.long 0xBF8C0F76
.long 0xD3B24012, 0x18033112
.long 0xBF8C0F75
.long 0xD3B24012, 0x18034112
.long 0xBF8C0F74
.long 0xD3B24012, 0x18035112
.long 0xBF8C0F73
.long 0xD3B24012, 0x18036112
.long 0xBF8C0F72
.long 0xD3B24012, 0x18037112
.long 0xBF8C0F71
.long 0xD3B24012, 0x18038112
.long 0xBF8C0F70
.long 0xD3B24012, 0x18039112
.long 0xBF820090
.long 0xBF8C0F78
.long 0xD3B24012, 0x18030112
.long 0xBF8C0F77
.long 0xD3B24012, 0x18031112
	;; [unrolled: 2-line block ×9, first 2 shown]
.long 0xBF820074
.long 0xBF8C0F77
.long 0xD3B24012, 0x18030112
.long 0xBF8C0F76
.long 0xD3B24012, 0x18031112
	;; [unrolled: 2-line block ×8, first 2 shown]
.long 0xBF82005B
.long 0xBF8C0F76
.long 0xD3B24012, 0x18030112
.long 0xBF8C0F75
.long 0xD3B24012, 0x18031112
	;; [unrolled: 2-line block ×7, first 2 shown]
.long 0xBF820045
.long 0xBF8C0F75
.long 0xD3B24012, 0x18030112
.long 0xBF8C0F74
.long 0xD3B24012, 0x18031112
	;; [unrolled: 2-line block ×6, first 2 shown]
.long 0xBF820032
.long 0xBF8C0F74
.long 0xD3B24012, 0x18030112
.long 0xBF8C0F73
.long 0xD3B24012, 0x18031112
	;; [unrolled: 2-line block ×5, first 2 shown]
.long 0xBF820022
.long 0xBF8C0F73
.long 0xD3B24012, 0x18030112
.long 0xBF8C0F72
.long 0xD3B24012, 0x18031112
	;; [unrolled: 2-line block ×4, first 2 shown]
.long 0xBF820015
.long 0xBF8C0F72
.long 0xD3B24012, 0x18030112
.long 0xBF8C0F71
.long 0xD3B24012, 0x18031112
	;; [unrolled: 2-line block ×3, first 2 shown]
.long 0xBF82000B
.long 0xBF8C0F71
.long 0xD3B24012, 0x18030112
.long 0xBF8C0F70
.long 0xD3B24012, 0x18031112
.long 0xBF820004
.long 0xBF8C0F70
.long 0xD3B24012, 0x18030112
.long 0xBF820000
.long 0x7E1602FF, 0x80000000
.long 0xBEDC0016
.long 0xBEDD0017
	;; [unrolled: 1-line block ×9, first 2 shown]
.long 0xE054D000, 0x80171606
.long 0xBE850032
.long 0x81858105
	;; [unrolled: 1-line block ×6, first 2 shown]
.long 0xE054D000, 0x80178006
.long 0x81858105
.long 0x805C565C
.long 0x825D575D
.long 0xBF008005
.long 0xBF850276
.long 0xE054D000, 0x80178806
.long 0x81858105
.long 0x805C565C
.long 0x825D575D
.long 0xBF008005
.long 0xBF850268
	;; [unrolled: 6-line block ×14, first 2 shown]
.long 0xE054D000, 0x8017F006
.long 0xBF8C0F7E
.long 0xD3B24016, 0x18030116
.long 0x81858105
.long 0xBF05CE05
.long 0xBF850217
.long 0x805C565C
.long 0x825D575D
.long 0xD0C60058, 0x00000A80
.long 0xD1000020, 0x01621706
.long 0xE054D000, 0x80178020
.long 0xBF8C0F7E
.long 0xD3B24016, 0x18031116
.long 0x81858105
.long 0xBF05CE05
.long 0xBF850209
.long 0x805C565C
.long 0x825D575D
.long 0xD0C60058, 0x00000A80
.long 0xD1000020, 0x01621706
	;; [unrolled: 10-line block ×15, first 2 shown]
.long 0xE054D000, 0x8017F020
.long 0xBF02CE05
.long 0xBF85FF2C
	;; [unrolled: 1-line block ×3, first 2 shown]
.long 0xD3B24016, 0x18030116
.long 0xBF8C0F7C
.long 0xD3B24016, 0x18031116
.long 0xBF8C0F7B
	;; [unrolled: 2-line block ×14, first 2 shown]
.long 0xBF8C0F7C
.long 0xD3B24016, 0x18030116
.long 0xBF8C0F7B
.long 0xD3B24016, 0x18031116
	;; [unrolled: 2-line block ×13, first 2 shown]
.long 0xBF8200F6
.long 0xBF8C0F7B
.long 0xD3B24016, 0x18030116
.long 0xBF8C0F7A
.long 0xD3B24016, 0x18031116
	;; [unrolled: 2-line block ×12, first 2 shown]
.long 0xBF8200D1
.long 0xBF8C0F7A
.long 0xD3B24016, 0x18030116
.long 0xBF8C0F79
.long 0xD3B24016, 0x18031116
	;; [unrolled: 2-line block ×11, first 2 shown]
.long 0xBF8200AF
.long 0xBF8C0F79
.long 0xD3B24016, 0x18030116
.long 0xBF8C0F78
.long 0xD3B24016, 0x18031116
	;; [unrolled: 2-line block ×10, first 2 shown]
.long 0xBF820090
.long 0xBF8C0F78
.long 0xD3B24016, 0x18030116
.long 0xBF8C0F77
.long 0xD3B24016, 0x18031116
	;; [unrolled: 2-line block ×9, first 2 shown]
.long 0xBF820074
.long 0xBF8C0F77
.long 0xD3B24016, 0x18030116
.long 0xBF8C0F76
.long 0xD3B24016, 0x18031116
	;; [unrolled: 2-line block ×8, first 2 shown]
.long 0xBF82005B
.long 0xBF8C0F76
.long 0xD3B24016, 0x18030116
.long 0xBF8C0F75
.long 0xD3B24016, 0x18031116
	;; [unrolled: 2-line block ×7, first 2 shown]
.long 0xBF820045
.long 0xBF8C0F75
.long 0xD3B24016, 0x18030116
.long 0xBF8C0F74
.long 0xD3B24016, 0x18031116
	;; [unrolled: 2-line block ×6, first 2 shown]
.long 0xBF820032
.long 0xBF8C0F74
.long 0xD3B24016, 0x18030116
.long 0xBF8C0F73
.long 0xD3B24016, 0x18031116
	;; [unrolled: 2-line block ×5, first 2 shown]
.long 0xBF820022
.long 0xBF8C0F73
.long 0xD3B24016, 0x18030116
.long 0xBF8C0F72
.long 0xD3B24016, 0x18031116
	;; [unrolled: 2-line block ×4, first 2 shown]
.long 0xBF820015
.long 0xBF8C0F72
.long 0xD3B24016, 0x18030116
.long 0xBF8C0F71
.long 0xD3B24016, 0x18031116
	;; [unrolled: 2-line block ×3, first 2 shown]
.long 0xBF82000B
.long 0xBF8C0F71
.long 0xD3B24016, 0x18030116
.long 0xBF8C0F70
.long 0xD3B24016, 0x18031116
.long 0xBF820004
.long 0xBF8C0F70
.long 0xD3B24016, 0x18030116
.long 0xBF820000
.long 0x7E1602FF, 0x80000000
.long 0xBEDC0016
.long 0xBEDD0017
	;; [unrolled: 1-line block ×9, first 2 shown]
.long 0xE054D000, 0x80171A06
.long 0xBE850032
.long 0x81858105
	;; [unrolled: 1-line block ×6, first 2 shown]
.long 0xE054D000, 0x80178006
.long 0x81858105
.long 0x805C565C
.long 0x825D575D
.long 0xBF008005
.long 0xBF850276
.long 0xE054D000, 0x80178806
.long 0x81858105
.long 0x805C565C
.long 0x825D575D
.long 0xBF008005
.long 0xBF850268
	;; [unrolled: 6-line block ×14, first 2 shown]
.long 0xE054D000, 0x8017F006
.long 0xBF8C0F7E
.long 0xD3B2401A, 0x1803011A
.long 0x81858105
.long 0xBF05CE05
.long 0xBF850217
.long 0x805C565C
.long 0x825D575D
.long 0xD0C60058, 0x00000A80
.long 0xD1000020, 0x01621706
.long 0xE054D000, 0x80178020
.long 0xBF8C0F7E
.long 0xD3B2401A, 0x1803111A
.long 0x81858105
.long 0xBF05CE05
.long 0xBF850209
.long 0x805C565C
.long 0x825D575D
.long 0xD0C60058, 0x00000A80
.long 0xD1000020, 0x01621706
	;; [unrolled: 10-line block ×15, first 2 shown]
.long 0xE054D000, 0x8017F020
.long 0xBF02CE05
.long 0xBF85FF2C
.long 0xBF8C0F7D
.long 0xD3B2401A, 0x1803011A
.long 0xBF8C0F7C
.long 0xD3B2401A, 0x1803111A
.long 0xBF8C0F7B
	;; [unrolled: 2-line block ×14, first 2 shown]
.long 0xBF8C0F7C
.long 0xD3B2401A, 0x1803011A
.long 0xBF8C0F7B
.long 0xD3B2401A, 0x1803111A
	;; [unrolled: 2-line block ×13, first 2 shown]
.long 0xBF8200F6
.long 0xBF8C0F7B
.long 0xD3B2401A, 0x1803011A
.long 0xBF8C0F7A
.long 0xD3B2401A, 0x1803111A
.long 0xBF8C0F79
.long 0xD3B2401A, 0x1803211A
.long 0xBF8C0F78
.long 0xD3B2401A, 0x1803311A
.long 0xBF8C0F77
.long 0xD3B2401A, 0x1803411A
.long 0xBF8C0F76
.long 0xD3B2401A, 0x1803511A
.long 0xBF8C0F75
.long 0xD3B2401A, 0x1803611A
.long 0xBF8C0F74
.long 0xD3B2401A, 0x1803711A
.long 0xBF8C0F73
.long 0xD3B2401A, 0x1803811A
.long 0xBF8C0F72
.long 0xD3B2401A, 0x1803911A
.long 0xBF8C0F71
.long 0xD3B2401A, 0x1803A11A
.long 0xBF8C0F70
.long 0xD3B2401A, 0x1803B11A
.long 0xBF8200D1
.long 0xBF8C0F7A
.long 0xD3B2401A, 0x1803011A
.long 0xBF8C0F79
.long 0xD3B2401A, 0x1803111A
	;; [unrolled: 2-line block ×11, first 2 shown]
.long 0xBF8200AF
.long 0xBF8C0F79
.long 0xD3B2401A, 0x1803011A
.long 0xBF8C0F78
.long 0xD3B2401A, 0x1803111A
	;; [unrolled: 2-line block ×10, first 2 shown]
.long 0xBF820090
.long 0xBF8C0F78
.long 0xD3B2401A, 0x1803011A
.long 0xBF8C0F77
.long 0xD3B2401A, 0x1803111A
	;; [unrolled: 2-line block ×9, first 2 shown]
.long 0xBF820074
.long 0xBF8C0F77
.long 0xD3B2401A, 0x1803011A
.long 0xBF8C0F76
.long 0xD3B2401A, 0x1803111A
	;; [unrolled: 2-line block ×8, first 2 shown]
.long 0xBF82005B
.long 0xBF8C0F76
.long 0xD3B2401A, 0x1803011A
.long 0xBF8C0F75
.long 0xD3B2401A, 0x1803111A
	;; [unrolled: 2-line block ×7, first 2 shown]
.long 0xBF820045
.long 0xBF8C0F75
.long 0xD3B2401A, 0x1803011A
.long 0xBF8C0F74
.long 0xD3B2401A, 0x1803111A
	;; [unrolled: 2-line block ×6, first 2 shown]
.long 0xBF820032
.long 0xBF8C0F74
.long 0xD3B2401A, 0x1803011A
.long 0xBF8C0F73
.long 0xD3B2401A, 0x1803111A
	;; [unrolled: 2-line block ×5, first 2 shown]
.long 0xBF820022
.long 0xBF8C0F73
.long 0xD3B2401A, 0x1803011A
.long 0xBF8C0F72
.long 0xD3B2401A, 0x1803111A
	;; [unrolled: 2-line block ×4, first 2 shown]
.long 0xBF820015
.long 0xBF8C0F72
.long 0xD3B2401A, 0x1803011A
.long 0xBF8C0F71
.long 0xD3B2401A, 0x1803111A
	;; [unrolled: 2-line block ×3, first 2 shown]
.long 0xBF82000B
.long 0xBF8C0F71
.long 0xD3B2401A, 0x1803011A
.long 0xBF8C0F70
.long 0xD3B2401A, 0x1803111A
.long 0xBF820004
.long 0xBF8C0F70
.long 0xD3B2401A, 0x1803011A
.long 0xBF820000
.long 0x7E1602FF, 0x80000000
.long 0xBEDC0016
.long 0xBEDD0017
	;; [unrolled: 1-line block ×9, first 2 shown]
.long 0xE054D000, 0x80171E06
.long 0xBE850032
.long 0x81858105
	;; [unrolled: 1-line block ×6, first 2 shown]
.long 0xE054D000, 0x80178006
.long 0x81858105
.long 0x805C565C
.long 0x825D575D
.long 0xBF008005
.long 0xBF850276
.long 0xE054D000, 0x80178806
.long 0x81858105
.long 0x805C565C
.long 0x825D575D
.long 0xBF008005
.long 0xBF850268
	;; [unrolled: 6-line block ×14, first 2 shown]
.long 0xE054D000, 0x8017F006
.long 0xBF8C0F7E
.long 0xD3B2401E, 0x1803011E
.long 0x81858105
.long 0xBF05CE05
.long 0xBF850217
.long 0x805C565C
.long 0x825D575D
.long 0xD0C60058, 0x00000A80
.long 0xD1000020, 0x01621706
.long 0xE054D000, 0x80178020
.long 0xBF8C0F7E
.long 0xD3B2401E, 0x1803111E
.long 0x81858105
.long 0xBF05CE05
.long 0xBF850209
.long 0x805C565C
.long 0x825D575D
.long 0xD0C60058, 0x00000A80
.long 0xD1000020, 0x01621706
	;; [unrolled: 10-line block ×15, first 2 shown]
.long 0xE054D000, 0x8017F020
.long 0xBF02CE05
.long 0xBF85FF2C
	;; [unrolled: 1-line block ×3, first 2 shown]
.long 0xD3B2401E, 0x1803011E
.long 0xBF8C0F7C
.long 0xD3B2401E, 0x1803111E
.long 0xBF8C0F7B
.long 0xD3B2401E, 0x1803211E
.long 0xBF8C0F7A
.long 0xD3B2401E, 0x1803311E
.long 0xBF8C0F79
.long 0xD3B2401E, 0x1803411E
.long 0xBF8C0F78
.long 0xD3B2401E, 0x1803511E
.long 0xBF8C0F77
.long 0xD3B2401E, 0x1803611E
.long 0xBF8C0F76
.long 0xD3B2401E, 0x1803711E
.long 0xBF8C0F75
.long 0xD3B2401E, 0x1803811E
.long 0xBF8C0F74
.long 0xD3B2401E, 0x1803911E
.long 0xBF8C0F73
.long 0xD3B2401E, 0x1803A11E
.long 0xBF8C0F72
.long 0xD3B2401E, 0x1803B11E
.long 0xBF8C0F71
.long 0xD3B2401E, 0x1803C11E
.long 0xBF8C0F70
.long 0xD3B2401E, 0x1803D11E
.long 0xBF82011E
.long 0xBF8C0F7C
.long 0xD3B2401E, 0x1803011E
.long 0xBF8C0F7B
.long 0xD3B2401E, 0x1803111E
	;; [unrolled: 2-line block ×13, first 2 shown]
.long 0xBF8200F6
.long 0xBF8C0F7B
.long 0xD3B2401E, 0x1803011E
.long 0xBF8C0F7A
.long 0xD3B2401E, 0x1803111E
	;; [unrolled: 2-line block ×12, first 2 shown]
.long 0xBF8200D1
.long 0xBF8C0F7A
.long 0xD3B2401E, 0x1803011E
.long 0xBF8C0F79
.long 0xD3B2401E, 0x1803111E
	;; [unrolled: 2-line block ×11, first 2 shown]
.long 0xBF8200AF
.long 0xBF8C0F79
.long 0xD3B2401E, 0x1803011E
.long 0xBF8C0F78
.long 0xD3B2401E, 0x1803111E
	;; [unrolled: 2-line block ×10, first 2 shown]
.long 0xBF820090
.long 0xBF8C0F78
.long 0xD3B2401E, 0x1803011E
.long 0xBF8C0F77
.long 0xD3B2401E, 0x1803111E
	;; [unrolled: 2-line block ×9, first 2 shown]
.long 0xBF820074
.long 0xBF8C0F77
.long 0xD3B2401E, 0x1803011E
.long 0xBF8C0F76
.long 0xD3B2401E, 0x1803111E
.long 0xBF8C0F75
.long 0xD3B2401E, 0x1803211E
.long 0xBF8C0F74
.long 0xD3B2401E, 0x1803311E
.long 0xBF8C0F73
.long 0xD3B2401E, 0x1803411E
.long 0xBF8C0F72
.long 0xD3B2401E, 0x1803511E
.long 0xBF8C0F71
.long 0xD3B2401E, 0x1803611E
.long 0xBF8C0F70
.long 0xD3B2401E, 0x1803711E
.long 0xBF82005B
.long 0xBF8C0F76
.long 0xD3B2401E, 0x1803011E
.long 0xBF8C0F75
.long 0xD3B2401E, 0x1803111E
	;; [unrolled: 2-line block ×7, first 2 shown]
.long 0xBF820045
.long 0xBF8C0F75
.long 0xD3B2401E, 0x1803011E
.long 0xBF8C0F74
.long 0xD3B2401E, 0x1803111E
	;; [unrolled: 2-line block ×6, first 2 shown]
.long 0xBF820032
.long 0xBF8C0F74
.long 0xD3B2401E, 0x1803011E
.long 0xBF8C0F73
.long 0xD3B2401E, 0x1803111E
	;; [unrolled: 2-line block ×5, first 2 shown]
.long 0xBF820022
.long 0xBF8C0F73
.long 0xD3B2401E, 0x1803011E
.long 0xBF8C0F72
.long 0xD3B2401E, 0x1803111E
	;; [unrolled: 2-line block ×4, first 2 shown]
.long 0xBF820015
.long 0xBF8C0F72
.long 0xD3B2401E, 0x1803011E
.long 0xBF8C0F71
.long 0xD3B2401E, 0x1803111E
	;; [unrolled: 2-line block ×3, first 2 shown]
.long 0xBF82000B
.long 0xBF8C0F71
.long 0xD3B2401E, 0x1803011E
.long 0xBF8C0F70
.long 0xD3B2401E, 0x1803111E
.long 0xBF820004
.long 0xBF8C0F70
.long 0xD3B2401E, 0x1803011E
.long 0xBF820000
.long 0x0A242430
	;; [unrolled: 1-line block ×9, first 2 shown]
.long 0xD0CC0038, 0x0001004A
.long 0xD1000010, 0x00E220F2
	;; [unrolled: 1-line block ×7, first 2 shown]
.long 0x0A08243E
.long 0xD046006A, 0x00010112
.long 0x00242504
.long 0x0A08263E
.long 0xD046006A, 0x00010113
.long 0x00262704
.long 0x7E241512
	;; [unrolled: 1-line block ×3, first 2 shown]
.long 0xD2A00012, 0x00022712
.long 0xE070D000, 0x80141207
.long 0xBF800000
.long 0xD0CC0038, 0x0001004A
.long 0xD1000010, 0x00E220F2
.long 0xD1000011, 0x00E222F2
.long 0xD3B14016, 0x18022D10
.long 0xD3A00016, 0x145A2831
.long 0xD3A01017, 0x145E2831
.long 0xD3B24016, 0x18022D0E
.long 0x0A082C3E
.long 0xD046006A, 0x00010116
.long 0x002C2D04
.long 0x0A082E3E
.long 0xD046006A, 0x00010117
.long 0x002E2F04
.long 0x7E2C1516
.long 0x7E2E1517
.long 0xD2A00016, 0x00022F16
.long 0x8E428128
.long 0x80504250
.long 0x82518051
.long 0xE070D000, 0x80141607
.long 0xBF800000
.long 0xD0CC0038, 0x0001004A
.long 0xD1000010, 0x00E220F2
.long 0xD1000011, 0x00E222F2
.long 0xD3B1401A, 0x18023510
.long 0xD3A0001A, 0x146A3031
.long 0xD3A0101B, 0x146E3031
.long 0xD3B2401A, 0x1802350E
.long 0x0A08343E
.long 0xD046006A, 0x0001011A
.long 0x00343504
.long 0x0A08363E
.long 0xD046006A, 0x0001011B
.long 0x00363704
.long 0x7E34151A
.long 0x7E36151B
.long 0xD2A0001A, 0x0002371A
.long 0x8E428128
.long 0x80504250
.long 0x82518051
	;; [unrolled: 21-line block ×3, first 2 shown]
.long 0xE070D000, 0x80141E07
.long 0xBF800000
.long 0xBF800000
	;; [unrolled: 1-line block ×3, first 2 shown]
.long 0xD1FE0008, 0x02060102
.long 0xE0501000, 0x80040C08
	;; [unrolled: 1-line block ×4, first 2 shown]
.long 0x24121282
.long 0xBF8CC07F
.long 0xBF8A0000
.long 0xD8EC0000, 0x0E000009
.long 0x24140082
.long 0xE0541000, 0x8012100A
.long 0x8E42812A
.long 0x80104210
.long 0x82118011
.long 0xE0501000, 0x80041408
.long 0x8E42812A
.long 0x80104210
	;; [unrolled: 4-line block ×3, first 2 shown]
.long 0x82118011
.long 0xE0501000, 0x80041C08
.long 0xD1FE0006, 0x020A0103
	;; [unrolled: 1-line block ×11, first 2 shown]
.long 0xBF800001
.long 0xE074D000, 0x80031206
.long 0x8E428228
.long 0x800C420C
.long 0x820D800D
.long 0xE074D000, 0x80031606
.long 0x8E428228
.long 0x800C420C
	;; [unrolled: 4-line block ×4, first 2 shown]
.long 0x92330454
.long 0x92411403
	;; [unrolled: 1-line block ×14, first 2 shown]
.long 0xC2330CCC, 0x00000000
.long 0x965B811C
.long 0x925A811C
	;; [unrolled: 1-line block ×15, first 2 shown]
.long 0x7E1602FF, 0x80000000
.long 0xBEDC0016
.long 0xBEDD0017
.long 0xBEDE000E
.long 0xBEDF000F
.long 0xBF8CC07F
.long 0xBF068133
.long 0xBF840ABA
.long 0xE054D000, 0x80171206
.long 0xBE850032
.long 0x81858105
	;; [unrolled: 1-line block ×6, first 2 shown]
.long 0xE054D000, 0x80178006
.long 0x81858105
.long 0x805C565C
.long 0x825D575D
.long 0xBF008005
.long 0xBF850276
.long 0xE054D000, 0x80178806
.long 0x81858105
.long 0x805C565C
.long 0x825D575D
.long 0xBF008005
.long 0xBF850268
	;; [unrolled: 6-line block ×14, first 2 shown]
.long 0xE054D000, 0x8017F006
.long 0xBF8C0F7E
.long 0xD3B24012, 0x18030112
.long 0x81858105
.long 0xBF05CE05
.long 0xBF850217
.long 0x805C565C
.long 0x825D575D
.long 0xD0C60058, 0x00000A80
.long 0xD1000020, 0x01621706
.long 0xE054D000, 0x80178020
.long 0xBF8C0F7E
.long 0xD3B24012, 0x18031112
.long 0x81858105
.long 0xBF05CE05
.long 0xBF850209
.long 0x805C565C
.long 0x825D575D
.long 0xD0C60058, 0x00000A80
.long 0xD1000020, 0x01621706
	;; [unrolled: 10-line block ×15, first 2 shown]
.long 0xE054D000, 0x8017F020
.long 0xBF02CE05
.long 0xBF85FF2C
	;; [unrolled: 1-line block ×3, first 2 shown]
.long 0xD3B24012, 0x18030112
.long 0xBF8C0F7C
.long 0xD3B24012, 0x18031112
.long 0xBF8C0F7B
.long 0xD3B24012, 0x18032112
.long 0xBF8C0F7A
.long 0xD3B24012, 0x18033112
.long 0xBF8C0F79
.long 0xD3B24012, 0x18034112
.long 0xBF8C0F78
.long 0xD3B24012, 0x18035112
.long 0xBF8C0F77
.long 0xD3B24012, 0x18036112
.long 0xBF8C0F76
.long 0xD3B24012, 0x18037112
.long 0xBF8C0F75
.long 0xD3B24012, 0x18038112
.long 0xBF8C0F74
.long 0xD3B24012, 0x18039112
.long 0xBF8C0F73
.long 0xD3B24012, 0x1803A112
.long 0xBF8C0F72
.long 0xD3B24012, 0x1803B112
.long 0xBF8C0F71
.long 0xD3B24012, 0x1803C112
.long 0xBF8C0F70
.long 0xD3B24012, 0x1803D112
.long 0xBF82011E
.long 0xBF8C0F7C
.long 0xD3B24012, 0x18030112
.long 0xBF8C0F7B
.long 0xD3B24012, 0x18031112
	;; [unrolled: 2-line block ×13, first 2 shown]
.long 0xBF8200F6
.long 0xBF8C0F7B
.long 0xD3B24012, 0x18030112
.long 0xBF8C0F7A
.long 0xD3B24012, 0x18031112
	;; [unrolled: 2-line block ×12, first 2 shown]
.long 0xBF8200D1
.long 0xBF8C0F7A
.long 0xD3B24012, 0x18030112
.long 0xBF8C0F79
.long 0xD3B24012, 0x18031112
	;; [unrolled: 2-line block ×11, first 2 shown]
.long 0xBF8200AF
.long 0xBF8C0F79
.long 0xD3B24012, 0x18030112
.long 0xBF8C0F78
.long 0xD3B24012, 0x18031112
	;; [unrolled: 2-line block ×10, first 2 shown]
.long 0xBF820090
.long 0xBF8C0F78
.long 0xD3B24012, 0x18030112
.long 0xBF8C0F77
.long 0xD3B24012, 0x18031112
	;; [unrolled: 2-line block ×9, first 2 shown]
.long 0xBF820074
.long 0xBF8C0F77
.long 0xD3B24012, 0x18030112
.long 0xBF8C0F76
.long 0xD3B24012, 0x18031112
	;; [unrolled: 2-line block ×8, first 2 shown]
.long 0xBF82005B
.long 0xBF8C0F76
.long 0xD3B24012, 0x18030112
.long 0xBF8C0F75
.long 0xD3B24012, 0x18031112
	;; [unrolled: 2-line block ×7, first 2 shown]
.long 0xBF820045
.long 0xBF8C0F75
.long 0xD3B24012, 0x18030112
.long 0xBF8C0F74
.long 0xD3B24012, 0x18031112
	;; [unrolled: 2-line block ×6, first 2 shown]
.long 0xBF820032
.long 0xBF8C0F74
.long 0xD3B24012, 0x18030112
.long 0xBF8C0F73
.long 0xD3B24012, 0x18031112
	;; [unrolled: 2-line block ×5, first 2 shown]
.long 0xBF820022
.long 0xBF8C0F73
.long 0xD3B24012, 0x18030112
.long 0xBF8C0F72
.long 0xD3B24012, 0x18031112
	;; [unrolled: 2-line block ×4, first 2 shown]
.long 0xBF820015
.long 0xBF8C0F72
.long 0xD3B24012, 0x18030112
.long 0xBF8C0F71
.long 0xD3B24012, 0x18031112
	;; [unrolled: 2-line block ×3, first 2 shown]
.long 0xBF82000B
.long 0xBF8C0F71
.long 0xD3B24012, 0x18030112
.long 0xBF8C0F70
.long 0xD3B24012, 0x18031112
.long 0xBF820004
.long 0xBF8C0F70
.long 0xD3B24012, 0x18030112
.long 0xBF820000
.long 0x7E1602FF, 0x80000000
.long 0xBEDC0016
.long 0xBEDD0017
	;; [unrolled: 1-line block ×9, first 2 shown]
.long 0xE054D000, 0x80171606
.long 0xBE850032
.long 0x81858105
	;; [unrolled: 1-line block ×6, first 2 shown]
.long 0xE054D000, 0x80178006
.long 0x81858105
.long 0x805C565C
.long 0x825D575D
.long 0xBF008005
.long 0xBF850276
.long 0xE054D000, 0x80178806
.long 0x81858105
.long 0x805C565C
.long 0x825D575D
.long 0xBF008005
.long 0xBF850268
	;; [unrolled: 6-line block ×14, first 2 shown]
.long 0xE054D000, 0x8017F006
.long 0xBF8C0F7E
.long 0xD3B24016, 0x18030116
.long 0x81858105
.long 0xBF05CE05
.long 0xBF850217
.long 0x805C565C
.long 0x825D575D
.long 0xD0C60058, 0x00000A80
.long 0xD1000020, 0x01621706
.long 0xE054D000, 0x80178020
.long 0xBF8C0F7E
.long 0xD3B24016, 0x18031116
.long 0x81858105
.long 0xBF05CE05
.long 0xBF850209
.long 0x805C565C
.long 0x825D575D
.long 0xD0C60058, 0x00000A80
.long 0xD1000020, 0x01621706
	;; [unrolled: 10-line block ×15, first 2 shown]
.long 0xE054D000, 0x8017F020
.long 0xBF02CE05
.long 0xBF85FF2C
.long 0xBF8C0F7D
.long 0xD3B24016, 0x18030116
.long 0xBF8C0F7C
.long 0xD3B24016, 0x18031116
.long 0xBF8C0F7B
	;; [unrolled: 2-line block ×14, first 2 shown]
.long 0xBF8C0F7C
.long 0xD3B24016, 0x18030116
.long 0xBF8C0F7B
.long 0xD3B24016, 0x18031116
	;; [unrolled: 2-line block ×13, first 2 shown]
.long 0xBF8200F6
.long 0xBF8C0F7B
.long 0xD3B24016, 0x18030116
.long 0xBF8C0F7A
.long 0xD3B24016, 0x18031116
	;; [unrolled: 2-line block ×12, first 2 shown]
.long 0xBF8200D1
.long 0xBF8C0F7A
.long 0xD3B24016, 0x18030116
.long 0xBF8C0F79
.long 0xD3B24016, 0x18031116
	;; [unrolled: 2-line block ×11, first 2 shown]
.long 0xBF8200AF
.long 0xBF8C0F79
.long 0xD3B24016, 0x18030116
.long 0xBF8C0F78
.long 0xD3B24016, 0x18031116
	;; [unrolled: 2-line block ×10, first 2 shown]
.long 0xBF820090
.long 0xBF8C0F78
.long 0xD3B24016, 0x18030116
.long 0xBF8C0F77
.long 0xD3B24016, 0x18031116
	;; [unrolled: 2-line block ×9, first 2 shown]
.long 0xBF820074
.long 0xBF8C0F77
.long 0xD3B24016, 0x18030116
.long 0xBF8C0F76
.long 0xD3B24016, 0x18031116
	;; [unrolled: 2-line block ×8, first 2 shown]
.long 0xBF82005B
.long 0xBF8C0F76
.long 0xD3B24016, 0x18030116
.long 0xBF8C0F75
.long 0xD3B24016, 0x18031116
	;; [unrolled: 2-line block ×7, first 2 shown]
.long 0xBF820045
.long 0xBF8C0F75
.long 0xD3B24016, 0x18030116
.long 0xBF8C0F74
.long 0xD3B24016, 0x18031116
	;; [unrolled: 2-line block ×6, first 2 shown]
.long 0xBF820032
.long 0xBF8C0F74
.long 0xD3B24016, 0x18030116
.long 0xBF8C0F73
.long 0xD3B24016, 0x18031116
	;; [unrolled: 2-line block ×5, first 2 shown]
.long 0xBF820022
.long 0xBF8C0F73
.long 0xD3B24016, 0x18030116
.long 0xBF8C0F72
.long 0xD3B24016, 0x18031116
	;; [unrolled: 2-line block ×4, first 2 shown]
.long 0xBF820015
.long 0xBF8C0F72
.long 0xD3B24016, 0x18030116
.long 0xBF8C0F71
.long 0xD3B24016, 0x18031116
	;; [unrolled: 2-line block ×3, first 2 shown]
.long 0xBF82000B
.long 0xBF8C0F71
.long 0xD3B24016, 0x18030116
.long 0xBF8C0F70
.long 0xD3B24016, 0x18031116
.long 0xBF820004
.long 0xBF8C0F70
.long 0xD3B24016, 0x18030116
.long 0xBF820000
.long 0x7E1602FF, 0x80000000
.long 0xBEDC0016
.long 0xBEDD0017
	;; [unrolled: 1-line block ×9, first 2 shown]
.long 0xE054D000, 0x80171A06
.long 0xBE850032
.long 0x81858105
	;; [unrolled: 1-line block ×6, first 2 shown]
.long 0xE054D000, 0x80178006
.long 0x81858105
.long 0x805C565C
.long 0x825D575D
.long 0xBF008005
.long 0xBF850276
.long 0xE054D000, 0x80178806
.long 0x81858105
.long 0x805C565C
.long 0x825D575D
.long 0xBF008005
.long 0xBF850268
	;; [unrolled: 6-line block ×14, first 2 shown]
.long 0xE054D000, 0x8017F006
.long 0xBF8C0F7E
.long 0xD3B2401A, 0x1803011A
.long 0x81858105
.long 0xBF05CE05
.long 0xBF850217
.long 0x805C565C
.long 0x825D575D
.long 0xD0C60058, 0x00000A80
.long 0xD1000020, 0x01621706
.long 0xE054D000, 0x80178020
.long 0xBF8C0F7E
.long 0xD3B2401A, 0x1803111A
.long 0x81858105
.long 0xBF05CE05
.long 0xBF850209
.long 0x805C565C
.long 0x825D575D
.long 0xD0C60058, 0x00000A80
.long 0xD1000020, 0x01621706
	;; [unrolled: 10-line block ×15, first 2 shown]
.long 0xE054D000, 0x8017F020
.long 0xBF02CE05
.long 0xBF85FF2C
.long 0xBF8C0F7D
.long 0xD3B2401A, 0x1803011A
.long 0xBF8C0F7C
.long 0xD3B2401A, 0x1803111A
.long 0xBF8C0F7B
	;; [unrolled: 2-line block ×14, first 2 shown]
.long 0xBF8C0F7C
.long 0xD3B2401A, 0x1803011A
.long 0xBF8C0F7B
.long 0xD3B2401A, 0x1803111A
	;; [unrolled: 2-line block ×13, first 2 shown]
.long 0xBF8200F6
.long 0xBF8C0F7B
.long 0xD3B2401A, 0x1803011A
.long 0xBF8C0F7A
.long 0xD3B2401A, 0x1803111A
	;; [unrolled: 2-line block ×12, first 2 shown]
.long 0xBF8200D1
.long 0xBF8C0F7A
.long 0xD3B2401A, 0x1803011A
.long 0xBF8C0F79
.long 0xD3B2401A, 0x1803111A
	;; [unrolled: 2-line block ×11, first 2 shown]
.long 0xBF8200AF
.long 0xBF8C0F79
.long 0xD3B2401A, 0x1803011A
.long 0xBF8C0F78
.long 0xD3B2401A, 0x1803111A
	;; [unrolled: 2-line block ×10, first 2 shown]
.long 0xBF820090
.long 0xBF8C0F78
.long 0xD3B2401A, 0x1803011A
.long 0xBF8C0F77
.long 0xD3B2401A, 0x1803111A
	;; [unrolled: 2-line block ×9, first 2 shown]
.long 0xBF820074
.long 0xBF8C0F77
.long 0xD3B2401A, 0x1803011A
.long 0xBF8C0F76
.long 0xD3B2401A, 0x1803111A
	;; [unrolled: 2-line block ×8, first 2 shown]
.long 0xBF82005B
.long 0xBF8C0F76
.long 0xD3B2401A, 0x1803011A
.long 0xBF8C0F75
.long 0xD3B2401A, 0x1803111A
	;; [unrolled: 2-line block ×7, first 2 shown]
.long 0xBF820045
.long 0xBF8C0F75
.long 0xD3B2401A, 0x1803011A
.long 0xBF8C0F74
.long 0xD3B2401A, 0x1803111A
	;; [unrolled: 2-line block ×6, first 2 shown]
.long 0xBF820032
.long 0xBF8C0F74
.long 0xD3B2401A, 0x1803011A
.long 0xBF8C0F73
.long 0xD3B2401A, 0x1803111A
	;; [unrolled: 2-line block ×5, first 2 shown]
.long 0xBF820022
.long 0xBF8C0F73
.long 0xD3B2401A, 0x1803011A
.long 0xBF8C0F72
.long 0xD3B2401A, 0x1803111A
	;; [unrolled: 2-line block ×4, first 2 shown]
.long 0xBF820015
.long 0xBF8C0F72
.long 0xD3B2401A, 0x1803011A
.long 0xBF8C0F71
.long 0xD3B2401A, 0x1803111A
	;; [unrolled: 2-line block ×3, first 2 shown]
.long 0xBF82000B
.long 0xBF8C0F71
.long 0xD3B2401A, 0x1803011A
.long 0xBF8C0F70
.long 0xD3B2401A, 0x1803111A
.long 0xBF820004
.long 0xBF8C0F70
.long 0xD3B2401A, 0x1803011A
.long 0xBF820000
.long 0x7E1602FF, 0x80000000
.long 0xBEDC0016
.long 0xBEDD0017
	;; [unrolled: 1-line block ×9, first 2 shown]
.long 0xE054D000, 0x80171E06
.long 0xBE850032
.long 0x81858105
	;; [unrolled: 1-line block ×6, first 2 shown]
.long 0xE054D000, 0x80178006
.long 0x81858105
.long 0x805C565C
.long 0x825D575D
.long 0xBF008005
.long 0xBF850276
.long 0xE054D000, 0x80178806
.long 0x81858105
.long 0x805C565C
.long 0x825D575D
.long 0xBF008005
.long 0xBF850268
	;; [unrolled: 6-line block ×14, first 2 shown]
.long 0xE054D000, 0x8017F006
.long 0xBF8C0F7E
.long 0xD3B2401E, 0x1803011E
.long 0x81858105
.long 0xBF05CE05
.long 0xBF850217
.long 0x805C565C
.long 0x825D575D
.long 0xD0C60058, 0x00000A80
.long 0xD1000020, 0x01621706
.long 0xE054D000, 0x80178020
.long 0xBF8C0F7E
.long 0xD3B2401E, 0x1803111E
.long 0x81858105
.long 0xBF05CE05
.long 0xBF850209
.long 0x805C565C
.long 0x825D575D
.long 0xD0C60058, 0x00000A80
.long 0xD1000020, 0x01621706
	;; [unrolled: 10-line block ×15, first 2 shown]
.long 0xE054D000, 0x8017F020
.long 0xBF02CE05
.long 0xBF85FF2C
	;; [unrolled: 1-line block ×3, first 2 shown]
.long 0xD3B2401E, 0x1803011E
.long 0xBF8C0F7C
.long 0xD3B2401E, 0x1803111E
.long 0xBF8C0F7B
	;; [unrolled: 2-line block ×14, first 2 shown]
.long 0xBF8C0F7C
.long 0xD3B2401E, 0x1803011E
.long 0xBF8C0F7B
.long 0xD3B2401E, 0x1803111E
	;; [unrolled: 2-line block ×13, first 2 shown]
.long 0xBF8200F6
.long 0xBF8C0F7B
.long 0xD3B2401E, 0x1803011E
.long 0xBF8C0F7A
.long 0xD3B2401E, 0x1803111E
	;; [unrolled: 2-line block ×12, first 2 shown]
.long 0xBF8200D1
.long 0xBF8C0F7A
.long 0xD3B2401E, 0x1803011E
.long 0xBF8C0F79
.long 0xD3B2401E, 0x1803111E
	;; [unrolled: 2-line block ×11, first 2 shown]
.long 0xBF8200AF
.long 0xBF8C0F79
.long 0xD3B2401E, 0x1803011E
.long 0xBF8C0F78
.long 0xD3B2401E, 0x1803111E
	;; [unrolled: 2-line block ×10, first 2 shown]
.long 0xBF820090
.long 0xBF8C0F78
.long 0xD3B2401E, 0x1803011E
.long 0xBF8C0F77
.long 0xD3B2401E, 0x1803111E
	;; [unrolled: 2-line block ×9, first 2 shown]
.long 0xBF820074
.long 0xBF8C0F77
.long 0xD3B2401E, 0x1803011E
.long 0xBF8C0F76
.long 0xD3B2401E, 0x1803111E
	;; [unrolled: 2-line block ×8, first 2 shown]
.long 0xBF82005B
.long 0xBF8C0F76
.long 0xD3B2401E, 0x1803011E
.long 0xBF8C0F75
.long 0xD3B2401E, 0x1803111E
	;; [unrolled: 2-line block ×7, first 2 shown]
.long 0xBF820045
.long 0xBF8C0F75
.long 0xD3B2401E, 0x1803011E
.long 0xBF8C0F74
.long 0xD3B2401E, 0x1803111E
	;; [unrolled: 2-line block ×6, first 2 shown]
.long 0xBF820032
.long 0xBF8C0F74
.long 0xD3B2401E, 0x1803011E
.long 0xBF8C0F73
.long 0xD3B2401E, 0x1803111E
	;; [unrolled: 2-line block ×5, first 2 shown]
.long 0xBF820022
.long 0xBF8C0F73
.long 0xD3B2401E, 0x1803011E
.long 0xBF8C0F72
.long 0xD3B2401E, 0x1803111E
.long 0xBF8C0F71
.long 0xD3B2401E, 0x1803211E
.long 0xBF8C0F70
.long 0xD3B2401E, 0x1803311E
.long 0xBF820015
.long 0xBF8C0F72
.long 0xD3B2401E, 0x1803011E
.long 0xBF8C0F71
.long 0xD3B2401E, 0x1803111E
	;; [unrolled: 2-line block ×3, first 2 shown]
.long 0xBF82000B
.long 0xBF8C0F71
.long 0xD3B2401E, 0x1803011E
.long 0xBF8C0F70
.long 0xD3B2401E, 0x1803111E
.long 0xBF820004
.long 0xBF8C0F70
.long 0xD3B2401E, 0x1803011E
.long 0xBF820000
.long 0x0A242430
	;; [unrolled: 1-line block ×9, first 2 shown]
.long 0xD0CC0038, 0x0001004A
.long 0xD1000010, 0x00E220F2
	;; [unrolled: 1-line block ×9, first 2 shown]
.long 0x7E241512
.long 0x7E261513
.long 0xD2A00012, 0x00022712
.long 0xE070D000, 0x80141207
.long 0xBF800000
.long 0xD0CC0038, 0x0001004A
.long 0xD1000010, 0x00E220F2
.long 0xD1000011, 0x00E222F2
.long 0xD3B14016, 0x18022D10
.long 0xD3A00016, 0x145A2831
.long 0xD3A01017, 0x145E2831
.long 0xD3B24016, 0x18022D0E
.long 0xD10B0016, 0x00010116
.long 0xD10B0017, 0x00010117
.long 0x7E2C1516
.long 0x7E2E1517
.long 0xD2A00016, 0x00022F16
.long 0x8E428128
.long 0x80504250
.long 0x82518051
.long 0xE070D000, 0x80141607
.long 0xBF800000
.long 0xD0CC0038, 0x0001004A
.long 0xD1000010, 0x00E220F2
.long 0xD1000011, 0x00E222F2
.long 0xD3B1401A, 0x18023510
.long 0xD3A0001A, 0x146A3031
.long 0xD3A0101B, 0x146E3031
.long 0xD3B2401A, 0x1802350E
.long 0xD10B001A, 0x0001011A
.long 0xD10B001B, 0x0001011B
.long 0x7E34151A
.long 0x7E36151B
.long 0xD2A0001A, 0x0002371A
.long 0x8E428128
.long 0x80504250
.long 0x82518051
	;; [unrolled: 17-line block ×3, first 2 shown]
.long 0xE070D000, 0x80141E07
.long 0xBF800000
.long 0xBF800000
	;; [unrolled: 1-line block ×3, first 2 shown]
.long 0xD1FE0008, 0x02060102
.long 0xE0501000, 0x80040C08
	;; [unrolled: 1-line block ×4, first 2 shown]
.long 0x24121282
.long 0xBF8CC07F
	;; [unrolled: 1-line block ×3, first 2 shown]
.long 0xD8EC0000, 0x0E000009
.long 0x24140082
.long 0xE0541000, 0x8012100A
.long 0x8E42812A
.long 0x80104210
.long 0x82118011
.long 0xE0501000, 0x80041408
.long 0x8E42812A
.long 0x80104210
	;; [unrolled: 4-line block ×3, first 2 shown]
.long 0x82118011
.long 0xE0501000, 0x80041C08
.long 0xD1FE0006, 0x020A0103
	;; [unrolled: 1-line block ×11, first 2 shown]
.long 0xBF800001
.long 0xE074D000, 0x80031206
.long 0x8E428228
.long 0x800C420C
.long 0x820D800D
.long 0xE074D000, 0x80031606
.long 0x8E428228
.long 0x800C420C
	;; [unrolled: 4-line block ×4, first 2 shown]
.long 0x92330454
.long 0x92411403
.long 0x80410241
.long 0x80413341
.long 0x7E660534
.long 0x92541E54
.long 0x8F338633
.long 0x92333354
.long 0x80414133
.long 0x8E418241
.long 0x80184146
.long 0x82198047
.long 0xBF8C0000
.long 0x80B38132
.long 0xC2330CCC, 0x00000000
.long 0x965B811C
.long 0x925A811C
	;; [unrolled: 1-line block ×15, first 2 shown]
.long 0x7E1602FF, 0x80000000
.long 0xBEDC0016
.long 0xBEDD0017
	;; [unrolled: 1-line block ×7, first 2 shown]
.long 0xE054D000, 0x80171206
.long 0xBE850032
.long 0x81858105
	;; [unrolled: 1-line block ×6, first 2 shown]
.long 0xE054D000, 0x80178006
.long 0x81858105
.long 0x805C565C
.long 0x825D575D
.long 0xBF008005
.long 0xBF850276
.long 0xE054D000, 0x80178806
.long 0x81858105
.long 0x805C565C
.long 0x825D575D
.long 0xBF008005
.long 0xBF850268
	;; [unrolled: 6-line block ×14, first 2 shown]
.long 0xE054D000, 0x8017F006
.long 0xBF8C0F7E
.long 0xD3B24012, 0x18030112
.long 0x81858105
.long 0xBF05CE05
.long 0xBF850217
.long 0x805C565C
.long 0x825D575D
.long 0xD0C60058, 0x00000A80
.long 0xD1000020, 0x01621706
.long 0xE054D000, 0x80178020
.long 0xBF8C0F7E
.long 0xD3B24012, 0x18031112
.long 0x81858105
.long 0xBF05CE05
.long 0xBF850209
.long 0x805C565C
.long 0x825D575D
.long 0xD0C60058, 0x00000A80
.long 0xD1000020, 0x01621706
	;; [unrolled: 10-line block ×15, first 2 shown]
.long 0xE054D000, 0x8017F020
.long 0xBF02CE05
.long 0xBF85FF2C
	;; [unrolled: 1-line block ×3, first 2 shown]
.long 0xD3B24012, 0x18030112
.long 0xBF8C0F7C
.long 0xD3B24012, 0x18031112
.long 0xBF8C0F7B
	;; [unrolled: 2-line block ×14, first 2 shown]
.long 0xBF8C0F7C
.long 0xD3B24012, 0x18030112
.long 0xBF8C0F7B
.long 0xD3B24012, 0x18031112
	;; [unrolled: 2-line block ×13, first 2 shown]
.long 0xBF8200F6
.long 0xBF8C0F7B
.long 0xD3B24012, 0x18030112
.long 0xBF8C0F7A
.long 0xD3B24012, 0x18031112
.long 0xBF8C0F79
.long 0xD3B24012, 0x18032112
.long 0xBF8C0F78
.long 0xD3B24012, 0x18033112
.long 0xBF8C0F77
.long 0xD3B24012, 0x18034112
.long 0xBF8C0F76
.long 0xD3B24012, 0x18035112
.long 0xBF8C0F75
.long 0xD3B24012, 0x18036112
.long 0xBF8C0F74
.long 0xD3B24012, 0x18037112
.long 0xBF8C0F73
.long 0xD3B24012, 0x18038112
.long 0xBF8C0F72
.long 0xD3B24012, 0x18039112
.long 0xBF8C0F71
.long 0xD3B24012, 0x1803A112
.long 0xBF8C0F70
.long 0xD3B24012, 0x1803B112
.long 0xBF8200D1
.long 0xBF8C0F7A
.long 0xD3B24012, 0x18030112
.long 0xBF8C0F79
.long 0xD3B24012, 0x18031112
	;; [unrolled: 2-line block ×11, first 2 shown]
.long 0xBF8200AF
.long 0xBF8C0F79
.long 0xD3B24012, 0x18030112
.long 0xBF8C0F78
.long 0xD3B24012, 0x18031112
	;; [unrolled: 2-line block ×10, first 2 shown]
.long 0xBF820090
.long 0xBF8C0F78
.long 0xD3B24012, 0x18030112
.long 0xBF8C0F77
.long 0xD3B24012, 0x18031112
	;; [unrolled: 2-line block ×9, first 2 shown]
.long 0xBF820074
.long 0xBF8C0F77
.long 0xD3B24012, 0x18030112
.long 0xBF8C0F76
.long 0xD3B24012, 0x18031112
	;; [unrolled: 2-line block ×8, first 2 shown]
.long 0xBF82005B
.long 0xBF8C0F76
.long 0xD3B24012, 0x18030112
.long 0xBF8C0F75
.long 0xD3B24012, 0x18031112
.long 0xBF8C0F74
.long 0xD3B24012, 0x18032112
.long 0xBF8C0F73
.long 0xD3B24012, 0x18033112
.long 0xBF8C0F72
.long 0xD3B24012, 0x18034112
.long 0xBF8C0F71
.long 0xD3B24012, 0x18035112
.long 0xBF8C0F70
.long 0xD3B24012, 0x18036112
.long 0xBF820045
.long 0xBF8C0F75
.long 0xD3B24012, 0x18030112
.long 0xBF8C0F74
.long 0xD3B24012, 0x18031112
	;; [unrolled: 2-line block ×6, first 2 shown]
.long 0xBF820032
.long 0xBF8C0F74
.long 0xD3B24012, 0x18030112
.long 0xBF8C0F73
.long 0xD3B24012, 0x18031112
	;; [unrolled: 2-line block ×5, first 2 shown]
.long 0xBF820022
.long 0xBF8C0F73
.long 0xD3B24012, 0x18030112
.long 0xBF8C0F72
.long 0xD3B24012, 0x18031112
	;; [unrolled: 2-line block ×4, first 2 shown]
.long 0xBF820015
.long 0xBF8C0F72
.long 0xD3B24012, 0x18030112
.long 0xBF8C0F71
.long 0xD3B24012, 0x18031112
	;; [unrolled: 2-line block ×3, first 2 shown]
.long 0xBF82000B
.long 0xBF8C0F71
.long 0xD3B24012, 0x18030112
.long 0xBF8C0F70
.long 0xD3B24012, 0x18031112
.long 0xBF820004
.long 0xBF8C0F70
.long 0xD3B24012, 0x18030112
.long 0xBF820000
.long 0x7E1602FF, 0x80000000
.long 0xBEDC0016
.long 0xBEDD0017
	;; [unrolled: 1-line block ×9, first 2 shown]
.long 0xE054D000, 0x80171606
.long 0xBE850032
.long 0x81858105
	;; [unrolled: 1-line block ×6, first 2 shown]
.long 0xE054D000, 0x80178006
.long 0x81858105
.long 0x805C565C
.long 0x825D575D
.long 0xBF008005
.long 0xBF850276
.long 0xE054D000, 0x80178806
.long 0x81858105
.long 0x805C565C
.long 0x825D575D
.long 0xBF008005
.long 0xBF850268
	;; [unrolled: 6-line block ×14, first 2 shown]
.long 0xE054D000, 0x8017F006
.long 0xBF8C0F7E
.long 0xD3B24016, 0x18030116
.long 0x81858105
.long 0xBF05CE05
.long 0xBF850217
.long 0x805C565C
.long 0x825D575D
.long 0xD0C60058, 0x00000A80
.long 0xD1000020, 0x01621706
.long 0xE054D000, 0x80178020
.long 0xBF8C0F7E
.long 0xD3B24016, 0x18031116
.long 0x81858105
.long 0xBF05CE05
.long 0xBF850209
.long 0x805C565C
.long 0x825D575D
.long 0xD0C60058, 0x00000A80
.long 0xD1000020, 0x01621706
	;; [unrolled: 10-line block ×15, first 2 shown]
.long 0xE054D000, 0x8017F020
.long 0xBF02CE05
.long 0xBF85FF2C
	;; [unrolled: 1-line block ×3, first 2 shown]
.long 0xD3B24016, 0x18030116
.long 0xBF8C0F7C
.long 0xD3B24016, 0x18031116
.long 0xBF8C0F7B
	;; [unrolled: 2-line block ×14, first 2 shown]
.long 0xBF8C0F7C
.long 0xD3B24016, 0x18030116
.long 0xBF8C0F7B
.long 0xD3B24016, 0x18031116
	;; [unrolled: 2-line block ×13, first 2 shown]
.long 0xBF8200F6
.long 0xBF8C0F7B
.long 0xD3B24016, 0x18030116
.long 0xBF8C0F7A
.long 0xD3B24016, 0x18031116
	;; [unrolled: 2-line block ×12, first 2 shown]
.long 0xBF8200D1
.long 0xBF8C0F7A
.long 0xD3B24016, 0x18030116
.long 0xBF8C0F79
.long 0xD3B24016, 0x18031116
	;; [unrolled: 2-line block ×11, first 2 shown]
.long 0xBF8200AF
.long 0xBF8C0F79
.long 0xD3B24016, 0x18030116
.long 0xBF8C0F78
.long 0xD3B24016, 0x18031116
	;; [unrolled: 2-line block ×10, first 2 shown]
.long 0xBF820090
.long 0xBF8C0F78
.long 0xD3B24016, 0x18030116
.long 0xBF8C0F77
.long 0xD3B24016, 0x18031116
	;; [unrolled: 2-line block ×9, first 2 shown]
.long 0xBF820074
.long 0xBF8C0F77
.long 0xD3B24016, 0x18030116
.long 0xBF8C0F76
.long 0xD3B24016, 0x18031116
	;; [unrolled: 2-line block ×8, first 2 shown]
.long 0xBF82005B
.long 0xBF8C0F76
.long 0xD3B24016, 0x18030116
.long 0xBF8C0F75
.long 0xD3B24016, 0x18031116
	;; [unrolled: 2-line block ×7, first 2 shown]
.long 0xBF820045
.long 0xBF8C0F75
.long 0xD3B24016, 0x18030116
.long 0xBF8C0F74
.long 0xD3B24016, 0x18031116
	;; [unrolled: 2-line block ×6, first 2 shown]
.long 0xBF820032
.long 0xBF8C0F74
.long 0xD3B24016, 0x18030116
.long 0xBF8C0F73
.long 0xD3B24016, 0x18031116
	;; [unrolled: 2-line block ×5, first 2 shown]
.long 0xBF820022
.long 0xBF8C0F73
.long 0xD3B24016, 0x18030116
.long 0xBF8C0F72
.long 0xD3B24016, 0x18031116
	;; [unrolled: 2-line block ×4, first 2 shown]
.long 0xBF820015
.long 0xBF8C0F72
.long 0xD3B24016, 0x18030116
.long 0xBF8C0F71
.long 0xD3B24016, 0x18031116
	;; [unrolled: 2-line block ×3, first 2 shown]
.long 0xBF82000B
.long 0xBF8C0F71
.long 0xD3B24016, 0x18030116
.long 0xBF8C0F70
.long 0xD3B24016, 0x18031116
.long 0xBF820004
.long 0xBF8C0F70
.long 0xD3B24016, 0x18030116
.long 0xBF820000
.long 0x7E1602FF, 0x80000000
.long 0xBEDC0016
.long 0xBEDD0017
	;; [unrolled: 1-line block ×9, first 2 shown]
.long 0xE054D000, 0x80171A06
.long 0xBE850032
.long 0x81858105
	;; [unrolled: 1-line block ×6, first 2 shown]
.long 0xE054D000, 0x80178006
.long 0x81858105
.long 0x805C565C
.long 0x825D575D
.long 0xBF008005
.long 0xBF850276
.long 0xE054D000, 0x80178806
.long 0x81858105
.long 0x805C565C
.long 0x825D575D
.long 0xBF008005
.long 0xBF850268
	;; [unrolled: 6-line block ×14, first 2 shown]
.long 0xE054D000, 0x8017F006
.long 0xBF8C0F7E
.long 0xD3B2401A, 0x1803011A
.long 0x81858105
.long 0xBF05CE05
.long 0xBF850217
.long 0x805C565C
.long 0x825D575D
.long 0xD0C60058, 0x00000A80
.long 0xD1000020, 0x01621706
.long 0xE054D000, 0x80178020
.long 0xBF8C0F7E
.long 0xD3B2401A, 0x1803111A
.long 0x81858105
.long 0xBF05CE05
.long 0xBF850209
.long 0x805C565C
.long 0x825D575D
.long 0xD0C60058, 0x00000A80
.long 0xD1000020, 0x01621706
	;; [unrolled: 10-line block ×15, first 2 shown]
.long 0xE054D000, 0x8017F020
.long 0xBF02CE05
.long 0xBF85FF2C
	;; [unrolled: 1-line block ×3, first 2 shown]
.long 0xD3B2401A, 0x1803011A
.long 0xBF8C0F7C
.long 0xD3B2401A, 0x1803111A
.long 0xBF8C0F7B
	;; [unrolled: 2-line block ×14, first 2 shown]
.long 0xBF8C0F7C
.long 0xD3B2401A, 0x1803011A
.long 0xBF8C0F7B
.long 0xD3B2401A, 0x1803111A
	;; [unrolled: 2-line block ×13, first 2 shown]
.long 0xBF8200F6
.long 0xBF8C0F7B
.long 0xD3B2401A, 0x1803011A
.long 0xBF8C0F7A
.long 0xD3B2401A, 0x1803111A
	;; [unrolled: 2-line block ×12, first 2 shown]
.long 0xBF8200D1
.long 0xBF8C0F7A
.long 0xD3B2401A, 0x1803011A
.long 0xBF8C0F79
.long 0xD3B2401A, 0x1803111A
	;; [unrolled: 2-line block ×11, first 2 shown]
.long 0xBF8200AF
.long 0xBF8C0F79
.long 0xD3B2401A, 0x1803011A
.long 0xBF8C0F78
.long 0xD3B2401A, 0x1803111A
	;; [unrolled: 2-line block ×10, first 2 shown]
.long 0xBF820090
.long 0xBF8C0F78
.long 0xD3B2401A, 0x1803011A
.long 0xBF8C0F77
.long 0xD3B2401A, 0x1803111A
	;; [unrolled: 2-line block ×9, first 2 shown]
.long 0xBF820074
.long 0xBF8C0F77
.long 0xD3B2401A, 0x1803011A
.long 0xBF8C0F76
.long 0xD3B2401A, 0x1803111A
	;; [unrolled: 2-line block ×8, first 2 shown]
.long 0xBF82005B
.long 0xBF8C0F76
.long 0xD3B2401A, 0x1803011A
.long 0xBF8C0F75
.long 0xD3B2401A, 0x1803111A
	;; [unrolled: 2-line block ×7, first 2 shown]
.long 0xBF820045
.long 0xBF8C0F75
.long 0xD3B2401A, 0x1803011A
.long 0xBF8C0F74
.long 0xD3B2401A, 0x1803111A
	;; [unrolled: 2-line block ×6, first 2 shown]
.long 0xBF820032
.long 0xBF8C0F74
.long 0xD3B2401A, 0x1803011A
.long 0xBF8C0F73
.long 0xD3B2401A, 0x1803111A
.long 0xBF8C0F72
.long 0xD3B2401A, 0x1803211A
.long 0xBF8C0F71
.long 0xD3B2401A, 0x1803311A
.long 0xBF8C0F70
.long 0xD3B2401A, 0x1803411A
.long 0xBF820022
.long 0xBF8C0F73
.long 0xD3B2401A, 0x1803011A
.long 0xBF8C0F72
.long 0xD3B2401A, 0x1803111A
	;; [unrolled: 2-line block ×4, first 2 shown]
.long 0xBF820015
.long 0xBF8C0F72
.long 0xD3B2401A, 0x1803011A
.long 0xBF8C0F71
.long 0xD3B2401A, 0x1803111A
	;; [unrolled: 2-line block ×3, first 2 shown]
.long 0xBF82000B
.long 0xBF8C0F71
.long 0xD3B2401A, 0x1803011A
.long 0xBF8C0F70
.long 0xD3B2401A, 0x1803111A
.long 0xBF820004
.long 0xBF8C0F70
.long 0xD3B2401A, 0x1803011A
.long 0xBF820000
.long 0x7E1602FF, 0x80000000
.long 0xBEDC0016
.long 0xBEDD0017
	;; [unrolled: 1-line block ×9, first 2 shown]
.long 0xE054D000, 0x80171E06
.long 0xBE850032
.long 0x81858105
	;; [unrolled: 1-line block ×6, first 2 shown]
.long 0xE054D000, 0x80178006
.long 0x81858105
.long 0x805C565C
.long 0x825D575D
.long 0xBF008005
.long 0xBF850276
.long 0xE054D000, 0x80178806
.long 0x81858105
.long 0x805C565C
.long 0x825D575D
.long 0xBF008005
.long 0xBF850268
	;; [unrolled: 6-line block ×14, first 2 shown]
.long 0xE054D000, 0x8017F006
.long 0xBF8C0F7E
.long 0xD3B2401E, 0x1803011E
.long 0x81858105
.long 0xBF05CE05
.long 0xBF850217
.long 0x805C565C
.long 0x825D575D
.long 0xD0C60058, 0x00000A80
.long 0xD1000020, 0x01621706
.long 0xE054D000, 0x80178020
.long 0xBF8C0F7E
.long 0xD3B2401E, 0x1803111E
.long 0x81858105
.long 0xBF05CE05
.long 0xBF850209
.long 0x805C565C
.long 0x825D575D
.long 0xD0C60058, 0x00000A80
.long 0xD1000020, 0x01621706
	;; [unrolled: 10-line block ×15, first 2 shown]
.long 0xE054D000, 0x8017F020
.long 0xBF02CE05
.long 0xBF85FF2C
	;; [unrolled: 1-line block ×3, first 2 shown]
.long 0xD3B2401E, 0x1803011E
.long 0xBF8C0F7C
.long 0xD3B2401E, 0x1803111E
.long 0xBF8C0F7B
	;; [unrolled: 2-line block ×14, first 2 shown]
.long 0xBF8C0F7C
.long 0xD3B2401E, 0x1803011E
.long 0xBF8C0F7B
.long 0xD3B2401E, 0x1803111E
	;; [unrolled: 2-line block ×13, first 2 shown]
.long 0xBF8200F6
.long 0xBF8C0F7B
.long 0xD3B2401E, 0x1803011E
.long 0xBF8C0F7A
.long 0xD3B2401E, 0x1803111E
	;; [unrolled: 2-line block ×12, first 2 shown]
.long 0xBF8200D1
.long 0xBF8C0F7A
.long 0xD3B2401E, 0x1803011E
.long 0xBF8C0F79
.long 0xD3B2401E, 0x1803111E
	;; [unrolled: 2-line block ×11, first 2 shown]
.long 0xBF8200AF
.long 0xBF8C0F79
.long 0xD3B2401E, 0x1803011E
.long 0xBF8C0F78
.long 0xD3B2401E, 0x1803111E
	;; [unrolled: 2-line block ×10, first 2 shown]
.long 0xBF820090
.long 0xBF8C0F78
.long 0xD3B2401E, 0x1803011E
.long 0xBF8C0F77
.long 0xD3B2401E, 0x1803111E
	;; [unrolled: 2-line block ×9, first 2 shown]
.long 0xBF820074
.long 0xBF8C0F77
.long 0xD3B2401E, 0x1803011E
.long 0xBF8C0F76
.long 0xD3B2401E, 0x1803111E
	;; [unrolled: 2-line block ×8, first 2 shown]
.long 0xBF82005B
.long 0xBF8C0F76
.long 0xD3B2401E, 0x1803011E
.long 0xBF8C0F75
.long 0xD3B2401E, 0x1803111E
.long 0xBF8C0F74
.long 0xD3B2401E, 0x1803211E
.long 0xBF8C0F73
.long 0xD3B2401E, 0x1803311E
.long 0xBF8C0F72
.long 0xD3B2401E, 0x1803411E
.long 0xBF8C0F71
.long 0xD3B2401E, 0x1803511E
.long 0xBF8C0F70
.long 0xD3B2401E, 0x1803611E
.long 0xBF820045
.long 0xBF8C0F75
.long 0xD3B2401E, 0x1803011E
.long 0xBF8C0F74
.long 0xD3B2401E, 0x1803111E
	;; [unrolled: 2-line block ×6, first 2 shown]
.long 0xBF820032
.long 0xBF8C0F74
.long 0xD3B2401E, 0x1803011E
.long 0xBF8C0F73
.long 0xD3B2401E, 0x1803111E
	;; [unrolled: 2-line block ×5, first 2 shown]
.long 0xBF820022
.long 0xBF8C0F73
.long 0xD3B2401E, 0x1803011E
.long 0xBF8C0F72
.long 0xD3B2401E, 0x1803111E
	;; [unrolled: 2-line block ×4, first 2 shown]
.long 0xBF820015
.long 0xBF8C0F72
.long 0xD3B2401E, 0x1803011E
.long 0xBF8C0F71
.long 0xD3B2401E, 0x1803111E
	;; [unrolled: 2-line block ×3, first 2 shown]
.long 0xBF82000B
.long 0xBF8C0F71
.long 0xD3B2401E, 0x1803011E
.long 0xBF8C0F70
.long 0xD3B2401E, 0x1803111E
.long 0xBF820004
.long 0xBF8C0F70
.long 0xD3B2401E, 0x1803011E
.long 0xBF820000
.long 0x0A242430
	;; [unrolled: 1-line block ×9, first 2 shown]
.long 0xD0CC0038, 0x0001004A
.long 0xD1000010, 0x00E220F2
	;; [unrolled: 1-line block ×8, first 2 shown]
.long 0x7E244112
.long 0xBF800000
	;; [unrolled: 1-line block ×5, first 2 shown]
.long 0x0A2626FF, 0xBFB8AA3B
.long 0x7E264113
.long 0xBF800000
	;; [unrolled: 1-line block ×7, first 2 shown]
.long 0xD2A00012, 0x00022712
.long 0xE070D000, 0x80141207
.long 0xBF800000
.long 0xD0CC0038, 0x0001004A
.long 0xD1000010, 0x00E220F2
.long 0xD1000011, 0x00E222F2
.long 0xD3B14016, 0x18022D10
.long 0xD3A00016, 0x145A2831
.long 0xD3A01017, 0x145E2831
.long 0xD3B24016, 0x18022D0E
.long 0x0A2C2CFF, 0xBFB8AA3B
.long 0x7E2C4116
.long 0xBF800000
.long 0x022C2CF2
.long 0x7E2C4516
.long 0xBF800000
.long 0x0A2E2EFF, 0xBFB8AA3B
.long 0x7E2E4117
.long 0xBF800000
.long 0x022E2EF2
.long 0x7E2E4517
.long 0xBF800000
.long 0x7E2C1516
.long 0x7E2E1517
.long 0xD2A00016, 0x00022F16
.long 0x8E428128
.long 0x80504250
.long 0x82518051
.long 0xE070D000, 0x80141607
.long 0xBF800000
.long 0xD0CC0038, 0x0001004A
.long 0xD1000010, 0x00E220F2
.long 0xD1000011, 0x00E222F2
.long 0xD3B1401A, 0x18023510
.long 0xD3A0001A, 0x146A3031
.long 0xD3A0101B, 0x146E3031
.long 0xD3B2401A, 0x1802350E
.long 0x0A3434FF, 0xBFB8AA3B
.long 0x7E34411A
.long 0xBF800000
.long 0x023434F2
.long 0x7E34451A
.long 0xBF800000
.long 0x0A3636FF, 0xBFB8AA3B
.long 0x7E36411B
.long 0xBF800000
.long 0x023636F2
.long 0x7E36451B
.long 0xBF800000
.long 0x7E34151A
.long 0x7E36151B
.long 0xD2A0001A, 0x0002371A
.long 0x8E428128
.long 0x80504250
.long 0x82518051
	;; [unrolled: 27-line block ×3, first 2 shown]
.long 0xE070D000, 0x80141E07
.long 0xBF800000
.long 0xBF800000
	;; [unrolled: 1-line block ×3, first 2 shown]
.long 0xD1FE0008, 0x02060102
.long 0xE0501000, 0x80040C08
	;; [unrolled: 1-line block ×4, first 2 shown]
.long 0x24121282
.long 0xBF8CC07F
.long 0xBF8A0000
.long 0xD8EC0000, 0x0E000009
.long 0x24140082
.long 0xE0541000, 0x8012100A
.long 0x8E42812A
.long 0x80104210
.long 0x82118011
.long 0xE0501000, 0x80041408
.long 0x8E42812A
.long 0x80104210
.long 0x82118011
.long 0xE0501000, 0x80041808
.long 0x8E42812A
.long 0x80104210
.long 0x82118011
.long 0xE0501000, 0x80041C08
.long 0xD1FE0006, 0x020A0103
	;; [unrolled: 1-line block ×11, first 2 shown]
.long 0xBF800001
.long 0xE074D000, 0x80031206
.long 0x8E428228
.long 0x800C420C
.long 0x820D800D
.long 0xE074D000, 0x80031606
.long 0x8E428228
.long 0x800C420C
	;; [unrolled: 4-line block ×4, first 2 shown]
.long 0x92330454
.long 0x92411403
	;; [unrolled: 1-line block ×14, first 2 shown]
.long 0xC2330CCC, 0x00000000
.long 0x965B811C
.long 0x925A811C
	;; [unrolled: 1-line block ×15, first 2 shown]
.long 0x7E1602FF, 0x80000000
.long 0xBEDC0016
.long 0xBEDD0017
	;; [unrolled: 1-line block ×7, first 2 shown]
.long 0xE054D000, 0x80171206
.long 0xBE850032
.long 0x81858105
	;; [unrolled: 1-line block ×6, first 2 shown]
.long 0xE054D000, 0x80178006
.long 0x81858105
.long 0x805C565C
.long 0x825D575D
.long 0xBF008005
.long 0xBF850276
.long 0xE054D000, 0x80178806
.long 0x81858105
.long 0x805C565C
.long 0x825D575D
.long 0xBF008005
.long 0xBF850268
	;; [unrolled: 6-line block ×14, first 2 shown]
.long 0xE054D000, 0x8017F006
.long 0xBF8C0F7E
.long 0xD3B24012, 0x18030112
.long 0x81858105
.long 0xBF05CE05
.long 0xBF850217
.long 0x805C565C
.long 0x825D575D
.long 0xD0C60058, 0x00000A80
.long 0xD1000020, 0x01621706
.long 0xE054D000, 0x80178020
.long 0xBF8C0F7E
.long 0xD3B24012, 0x18031112
.long 0x81858105
.long 0xBF05CE05
.long 0xBF850209
.long 0x805C565C
.long 0x825D575D
.long 0xD0C60058, 0x00000A80
.long 0xD1000020, 0x01621706
	;; [unrolled: 10-line block ×15, first 2 shown]
.long 0xE054D000, 0x8017F020
.long 0xBF02CE05
.long 0xBF85FF2C
	;; [unrolled: 1-line block ×3, first 2 shown]
.long 0xD3B24012, 0x18030112
.long 0xBF8C0F7C
.long 0xD3B24012, 0x18031112
.long 0xBF8C0F7B
	;; [unrolled: 2-line block ×14, first 2 shown]
.long 0xBF8C0F7C
.long 0xD3B24012, 0x18030112
.long 0xBF8C0F7B
.long 0xD3B24012, 0x18031112
	;; [unrolled: 2-line block ×13, first 2 shown]
.long 0xBF8200F6
.long 0xBF8C0F7B
.long 0xD3B24012, 0x18030112
.long 0xBF8C0F7A
.long 0xD3B24012, 0x18031112
	;; [unrolled: 2-line block ×12, first 2 shown]
.long 0xBF8200D1
.long 0xBF8C0F7A
.long 0xD3B24012, 0x18030112
.long 0xBF8C0F79
.long 0xD3B24012, 0x18031112
	;; [unrolled: 2-line block ×11, first 2 shown]
.long 0xBF8200AF
.long 0xBF8C0F79
.long 0xD3B24012, 0x18030112
.long 0xBF8C0F78
.long 0xD3B24012, 0x18031112
	;; [unrolled: 2-line block ×10, first 2 shown]
.long 0xBF820090
.long 0xBF8C0F78
.long 0xD3B24012, 0x18030112
.long 0xBF8C0F77
.long 0xD3B24012, 0x18031112
	;; [unrolled: 2-line block ×9, first 2 shown]
.long 0xBF820074
.long 0xBF8C0F77
.long 0xD3B24012, 0x18030112
.long 0xBF8C0F76
.long 0xD3B24012, 0x18031112
	;; [unrolled: 2-line block ×8, first 2 shown]
.long 0xBF82005B
.long 0xBF8C0F76
.long 0xD3B24012, 0x18030112
.long 0xBF8C0F75
.long 0xD3B24012, 0x18031112
	;; [unrolled: 2-line block ×7, first 2 shown]
.long 0xBF820045
.long 0xBF8C0F75
.long 0xD3B24012, 0x18030112
.long 0xBF8C0F74
.long 0xD3B24012, 0x18031112
	;; [unrolled: 2-line block ×6, first 2 shown]
.long 0xBF820032
.long 0xBF8C0F74
.long 0xD3B24012, 0x18030112
.long 0xBF8C0F73
.long 0xD3B24012, 0x18031112
	;; [unrolled: 2-line block ×5, first 2 shown]
.long 0xBF820022
.long 0xBF8C0F73
.long 0xD3B24012, 0x18030112
.long 0xBF8C0F72
.long 0xD3B24012, 0x18031112
	;; [unrolled: 2-line block ×4, first 2 shown]
.long 0xBF820015
.long 0xBF8C0F72
.long 0xD3B24012, 0x18030112
.long 0xBF8C0F71
.long 0xD3B24012, 0x18031112
	;; [unrolled: 2-line block ×3, first 2 shown]
.long 0xBF82000B
.long 0xBF8C0F71
.long 0xD3B24012, 0x18030112
.long 0xBF8C0F70
.long 0xD3B24012, 0x18031112
.long 0xBF820004
.long 0xBF8C0F70
.long 0xD3B24012, 0x18030112
.long 0xBF820000
.long 0x7E1602FF, 0x80000000
.long 0xBEDC0016
.long 0xBEDD0017
	;; [unrolled: 1-line block ×9, first 2 shown]
.long 0xE054D000, 0x80171606
.long 0xBE850032
.long 0x81858105
	;; [unrolled: 1-line block ×6, first 2 shown]
.long 0xE054D000, 0x80178006
.long 0x81858105
.long 0x805C565C
.long 0x825D575D
.long 0xBF008005
.long 0xBF850276
.long 0xE054D000, 0x80178806
.long 0x81858105
.long 0x805C565C
.long 0x825D575D
.long 0xBF008005
.long 0xBF850268
	;; [unrolled: 6-line block ×14, first 2 shown]
.long 0xE054D000, 0x8017F006
.long 0xBF8C0F7E
.long 0xD3B24016, 0x18030116
.long 0x81858105
.long 0xBF05CE05
.long 0xBF850217
.long 0x805C565C
.long 0x825D575D
.long 0xD0C60058, 0x00000A80
.long 0xD1000020, 0x01621706
.long 0xE054D000, 0x80178020
.long 0xBF8C0F7E
.long 0xD3B24016, 0x18031116
.long 0x81858105
.long 0xBF05CE05
.long 0xBF850209
.long 0x805C565C
.long 0x825D575D
.long 0xD0C60058, 0x00000A80
.long 0xD1000020, 0x01621706
	;; [unrolled: 10-line block ×15, first 2 shown]
.long 0xE054D000, 0x8017F020
.long 0xBF02CE05
.long 0xBF85FF2C
	;; [unrolled: 1-line block ×3, first 2 shown]
.long 0xD3B24016, 0x18030116
.long 0xBF8C0F7C
.long 0xD3B24016, 0x18031116
.long 0xBF8C0F7B
	;; [unrolled: 2-line block ×14, first 2 shown]
.long 0xBF8C0F7C
.long 0xD3B24016, 0x18030116
.long 0xBF8C0F7B
.long 0xD3B24016, 0x18031116
	;; [unrolled: 2-line block ×13, first 2 shown]
.long 0xBF8200F6
.long 0xBF8C0F7B
.long 0xD3B24016, 0x18030116
.long 0xBF8C0F7A
.long 0xD3B24016, 0x18031116
.long 0xBF8C0F79
.long 0xD3B24016, 0x18032116
.long 0xBF8C0F78
.long 0xD3B24016, 0x18033116
.long 0xBF8C0F77
.long 0xD3B24016, 0x18034116
.long 0xBF8C0F76
.long 0xD3B24016, 0x18035116
.long 0xBF8C0F75
.long 0xD3B24016, 0x18036116
.long 0xBF8C0F74
.long 0xD3B24016, 0x18037116
.long 0xBF8C0F73
.long 0xD3B24016, 0x18038116
.long 0xBF8C0F72
.long 0xD3B24016, 0x18039116
.long 0xBF8C0F71
.long 0xD3B24016, 0x1803A116
.long 0xBF8C0F70
.long 0xD3B24016, 0x1803B116
.long 0xBF8200D1
.long 0xBF8C0F7A
.long 0xD3B24016, 0x18030116
.long 0xBF8C0F79
.long 0xD3B24016, 0x18031116
	;; [unrolled: 2-line block ×11, first 2 shown]
.long 0xBF8200AF
.long 0xBF8C0F79
.long 0xD3B24016, 0x18030116
.long 0xBF8C0F78
.long 0xD3B24016, 0x18031116
	;; [unrolled: 2-line block ×10, first 2 shown]
.long 0xBF820090
.long 0xBF8C0F78
.long 0xD3B24016, 0x18030116
.long 0xBF8C0F77
.long 0xD3B24016, 0x18031116
	;; [unrolled: 2-line block ×9, first 2 shown]
.long 0xBF820074
.long 0xBF8C0F77
.long 0xD3B24016, 0x18030116
.long 0xBF8C0F76
.long 0xD3B24016, 0x18031116
	;; [unrolled: 2-line block ×8, first 2 shown]
.long 0xBF82005B
.long 0xBF8C0F76
.long 0xD3B24016, 0x18030116
.long 0xBF8C0F75
.long 0xD3B24016, 0x18031116
	;; [unrolled: 2-line block ×7, first 2 shown]
.long 0xBF820045
.long 0xBF8C0F75
.long 0xD3B24016, 0x18030116
.long 0xBF8C0F74
.long 0xD3B24016, 0x18031116
	;; [unrolled: 2-line block ×6, first 2 shown]
.long 0xBF820032
.long 0xBF8C0F74
.long 0xD3B24016, 0x18030116
.long 0xBF8C0F73
.long 0xD3B24016, 0x18031116
	;; [unrolled: 2-line block ×5, first 2 shown]
.long 0xBF820022
.long 0xBF8C0F73
.long 0xD3B24016, 0x18030116
.long 0xBF8C0F72
.long 0xD3B24016, 0x18031116
	;; [unrolled: 2-line block ×4, first 2 shown]
.long 0xBF820015
.long 0xBF8C0F72
.long 0xD3B24016, 0x18030116
.long 0xBF8C0F71
.long 0xD3B24016, 0x18031116
	;; [unrolled: 2-line block ×3, first 2 shown]
.long 0xBF82000B
.long 0xBF8C0F71
.long 0xD3B24016, 0x18030116
.long 0xBF8C0F70
.long 0xD3B24016, 0x18031116
.long 0xBF820004
.long 0xBF8C0F70
.long 0xD3B24016, 0x18030116
.long 0xBF820000
.long 0x7E1602FF, 0x80000000
.long 0xBEDC0016
.long 0xBEDD0017
	;; [unrolled: 1-line block ×9, first 2 shown]
.long 0xE054D000, 0x80171A06
.long 0xBE850032
.long 0x81858105
	;; [unrolled: 1-line block ×6, first 2 shown]
.long 0xE054D000, 0x80178006
.long 0x81858105
.long 0x805C565C
.long 0x825D575D
.long 0xBF008005
.long 0xBF850276
.long 0xE054D000, 0x80178806
.long 0x81858105
.long 0x805C565C
.long 0x825D575D
.long 0xBF008005
.long 0xBF850268
	;; [unrolled: 6-line block ×14, first 2 shown]
.long 0xE054D000, 0x8017F006
.long 0xBF8C0F7E
.long 0xD3B2401A, 0x1803011A
.long 0x81858105
.long 0xBF05CE05
.long 0xBF850217
.long 0x805C565C
.long 0x825D575D
.long 0xD0C60058, 0x00000A80
.long 0xD1000020, 0x01621706
.long 0xE054D000, 0x80178020
.long 0xBF8C0F7E
.long 0xD3B2401A, 0x1803111A
.long 0x81858105
.long 0xBF05CE05
.long 0xBF850209
.long 0x805C565C
.long 0x825D575D
.long 0xD0C60058, 0x00000A80
.long 0xD1000020, 0x01621706
	;; [unrolled: 10-line block ×15, first 2 shown]
.long 0xE054D000, 0x8017F020
.long 0xBF02CE05
.long 0xBF85FF2C
	;; [unrolled: 1-line block ×3, first 2 shown]
.long 0xD3B2401A, 0x1803011A
.long 0xBF8C0F7C
.long 0xD3B2401A, 0x1803111A
.long 0xBF8C0F7B
	;; [unrolled: 2-line block ×14, first 2 shown]
.long 0xBF8C0F7C
.long 0xD3B2401A, 0x1803011A
.long 0xBF8C0F7B
.long 0xD3B2401A, 0x1803111A
	;; [unrolled: 2-line block ×13, first 2 shown]
.long 0xBF8200F6
.long 0xBF8C0F7B
.long 0xD3B2401A, 0x1803011A
.long 0xBF8C0F7A
.long 0xD3B2401A, 0x1803111A
	;; [unrolled: 2-line block ×12, first 2 shown]
.long 0xBF8200D1
.long 0xBF8C0F7A
.long 0xD3B2401A, 0x1803011A
.long 0xBF8C0F79
.long 0xD3B2401A, 0x1803111A
	;; [unrolled: 2-line block ×11, first 2 shown]
.long 0xBF8200AF
.long 0xBF8C0F79
.long 0xD3B2401A, 0x1803011A
.long 0xBF8C0F78
.long 0xD3B2401A, 0x1803111A
.long 0xBF8C0F77
.long 0xD3B2401A, 0x1803211A
.long 0xBF8C0F76
.long 0xD3B2401A, 0x1803311A
.long 0xBF8C0F75
.long 0xD3B2401A, 0x1803411A
.long 0xBF8C0F74
.long 0xD3B2401A, 0x1803511A
.long 0xBF8C0F73
.long 0xD3B2401A, 0x1803611A
.long 0xBF8C0F72
.long 0xD3B2401A, 0x1803711A
.long 0xBF8C0F71
.long 0xD3B2401A, 0x1803811A
.long 0xBF8C0F70
.long 0xD3B2401A, 0x1803911A
.long 0xBF820090
.long 0xBF8C0F78
.long 0xD3B2401A, 0x1803011A
.long 0xBF8C0F77
.long 0xD3B2401A, 0x1803111A
	;; [unrolled: 2-line block ×9, first 2 shown]
.long 0xBF820074
.long 0xBF8C0F77
.long 0xD3B2401A, 0x1803011A
.long 0xBF8C0F76
.long 0xD3B2401A, 0x1803111A
	;; [unrolled: 2-line block ×8, first 2 shown]
.long 0xBF82005B
.long 0xBF8C0F76
.long 0xD3B2401A, 0x1803011A
.long 0xBF8C0F75
.long 0xD3B2401A, 0x1803111A
.long 0xBF8C0F74
.long 0xD3B2401A, 0x1803211A
.long 0xBF8C0F73
.long 0xD3B2401A, 0x1803311A
.long 0xBF8C0F72
.long 0xD3B2401A, 0x1803411A
.long 0xBF8C0F71
.long 0xD3B2401A, 0x1803511A
.long 0xBF8C0F70
.long 0xD3B2401A, 0x1803611A
.long 0xBF820045
.long 0xBF8C0F75
.long 0xD3B2401A, 0x1803011A
.long 0xBF8C0F74
.long 0xD3B2401A, 0x1803111A
	;; [unrolled: 2-line block ×6, first 2 shown]
.long 0xBF820032
.long 0xBF8C0F74
.long 0xD3B2401A, 0x1803011A
.long 0xBF8C0F73
.long 0xD3B2401A, 0x1803111A
	;; [unrolled: 2-line block ×5, first 2 shown]
.long 0xBF820022
.long 0xBF8C0F73
.long 0xD3B2401A, 0x1803011A
.long 0xBF8C0F72
.long 0xD3B2401A, 0x1803111A
	;; [unrolled: 2-line block ×4, first 2 shown]
.long 0xBF820015
.long 0xBF8C0F72
.long 0xD3B2401A, 0x1803011A
.long 0xBF8C0F71
.long 0xD3B2401A, 0x1803111A
	;; [unrolled: 2-line block ×3, first 2 shown]
.long 0xBF82000B
.long 0xBF8C0F71
.long 0xD3B2401A, 0x1803011A
.long 0xBF8C0F70
.long 0xD3B2401A, 0x1803111A
.long 0xBF820004
.long 0xBF8C0F70
.long 0xD3B2401A, 0x1803011A
.long 0xBF820000
.long 0x7E1602FF, 0x80000000
.long 0xBEDC0016
.long 0xBEDD0017
	;; [unrolled: 1-line block ×9, first 2 shown]
.long 0xE054D000, 0x80171E06
.long 0xBE850032
.long 0x81858105
	;; [unrolled: 1-line block ×6, first 2 shown]
.long 0xE054D000, 0x80178006
.long 0x81858105
.long 0x805C565C
.long 0x825D575D
.long 0xBF008005
.long 0xBF850276
.long 0xE054D000, 0x80178806
.long 0x81858105
.long 0x805C565C
.long 0x825D575D
.long 0xBF008005
.long 0xBF850268
	;; [unrolled: 6-line block ×14, first 2 shown]
.long 0xE054D000, 0x8017F006
.long 0xBF8C0F7E
.long 0xD3B2401E, 0x1803011E
.long 0x81858105
.long 0xBF05CE05
.long 0xBF850217
.long 0x805C565C
.long 0x825D575D
.long 0xD0C60058, 0x00000A80
.long 0xD1000020, 0x01621706
.long 0xE054D000, 0x80178020
.long 0xBF8C0F7E
.long 0xD3B2401E, 0x1803111E
.long 0x81858105
.long 0xBF05CE05
.long 0xBF850209
.long 0x805C565C
.long 0x825D575D
.long 0xD0C60058, 0x00000A80
.long 0xD1000020, 0x01621706
	;; [unrolled: 10-line block ×15, first 2 shown]
.long 0xE054D000, 0x8017F020
.long 0xBF02CE05
.long 0xBF85FF2C
	;; [unrolled: 1-line block ×3, first 2 shown]
.long 0xD3B2401E, 0x1803011E
.long 0xBF8C0F7C
.long 0xD3B2401E, 0x1803111E
.long 0xBF8C0F7B
	;; [unrolled: 2-line block ×14, first 2 shown]
.long 0xBF8C0F7C
.long 0xD3B2401E, 0x1803011E
.long 0xBF8C0F7B
.long 0xD3B2401E, 0x1803111E
	;; [unrolled: 2-line block ×13, first 2 shown]
.long 0xBF8200F6
.long 0xBF8C0F7B
.long 0xD3B2401E, 0x1803011E
.long 0xBF8C0F7A
.long 0xD3B2401E, 0x1803111E
	;; [unrolled: 2-line block ×12, first 2 shown]
.long 0xBF8200D1
.long 0xBF8C0F7A
.long 0xD3B2401E, 0x1803011E
.long 0xBF8C0F79
.long 0xD3B2401E, 0x1803111E
	;; [unrolled: 2-line block ×11, first 2 shown]
.long 0xBF8200AF
.long 0xBF8C0F79
.long 0xD3B2401E, 0x1803011E
.long 0xBF8C0F78
.long 0xD3B2401E, 0x1803111E
	;; [unrolled: 2-line block ×10, first 2 shown]
.long 0xBF820090
.long 0xBF8C0F78
.long 0xD3B2401E, 0x1803011E
.long 0xBF8C0F77
.long 0xD3B2401E, 0x1803111E
	;; [unrolled: 2-line block ×9, first 2 shown]
.long 0xBF820074
.long 0xBF8C0F77
.long 0xD3B2401E, 0x1803011E
.long 0xBF8C0F76
.long 0xD3B2401E, 0x1803111E
	;; [unrolled: 2-line block ×8, first 2 shown]
.long 0xBF82005B
.long 0xBF8C0F76
.long 0xD3B2401E, 0x1803011E
.long 0xBF8C0F75
.long 0xD3B2401E, 0x1803111E
	;; [unrolled: 2-line block ×7, first 2 shown]
.long 0xBF820045
.long 0xBF8C0F75
.long 0xD3B2401E, 0x1803011E
.long 0xBF8C0F74
.long 0xD3B2401E, 0x1803111E
	;; [unrolled: 2-line block ×6, first 2 shown]
.long 0xBF820032
.long 0xBF8C0F74
.long 0xD3B2401E, 0x1803011E
.long 0xBF8C0F73
.long 0xD3B2401E, 0x1803111E
	;; [unrolled: 2-line block ×5, first 2 shown]
.long 0xBF820022
.long 0xBF8C0F73
.long 0xD3B2401E, 0x1803011E
.long 0xBF8C0F72
.long 0xD3B2401E, 0x1803111E
	;; [unrolled: 2-line block ×4, first 2 shown]
.long 0xBF820015
.long 0xBF8C0F72
.long 0xD3B2401E, 0x1803011E
.long 0xBF8C0F71
.long 0xD3B2401E, 0x1803111E
	;; [unrolled: 2-line block ×3, first 2 shown]
.long 0xBF82000B
.long 0xBF8C0F71
.long 0xD3B2401E, 0x1803011E
.long 0xBF8C0F70
.long 0xD3B2401E, 0x1803111E
.long 0xBF820004
.long 0xBF8C0F70
.long 0xD3B2401E, 0x1803011E
.long 0xBF820000
.long 0x0A242430
	;; [unrolled: 1-line block ×9, first 2 shown]
.long 0xD0CC0038, 0x0001004A
.long 0xD1000010, 0x00E220F2
	;; [unrolled: 1-line block ×7, first 2 shown]
.long 0x0A24243E
.long 0x0A2424FF, 0x4038AA3B
.long 0x7E244112
.long 0xBF800000
	;; [unrolled: 1-line block ×5, first 2 shown]
.long 0xD1CB0012, 0x03CA24F5
.long 0x0A24243F
.long 0x0A26263E
.long 0x0A2626FF, 0x4038AA3B
.long 0x7E264113
.long 0xBF800000
	;; [unrolled: 1-line block ×5, first 2 shown]
.long 0xD1CB0013, 0x03CA26F5
.long 0x0A26263F
.long 0x7E241512
	;; [unrolled: 1-line block ×3, first 2 shown]
.long 0xD2A00012, 0x00022712
.long 0xE070D000, 0x80141207
.long 0xBF800000
.long 0xD0CC0038, 0x0001004A
.long 0xD1000010, 0x00E220F2
.long 0xD1000011, 0x00E222F2
.long 0xD3B14016, 0x18022D10
.long 0xD3A00016, 0x145A2831
.long 0xD3A01017, 0x145E2831
.long 0xD3B24016, 0x18022D0E
.long 0x0A2C2C3E
.long 0x0A2C2CFF, 0x4038AA3B
.long 0x7E2C4116
.long 0xBF800000
.long 0x022C2CF2
.long 0x7E2C4516
.long 0xBF800000
.long 0xD1CB0016, 0x03CA2CF5
.long 0x0A2C2C3F
.long 0x0A2E2E3E
.long 0x0A2E2EFF, 0x4038AA3B
.long 0x7E2E4117
.long 0xBF800000
.long 0x022E2EF2
.long 0x7E2E4517
.long 0xBF800000
.long 0xD1CB0017, 0x03CA2EF5
.long 0x0A2E2E3F
.long 0x7E2C1516
.long 0x7E2E1517
.long 0xD2A00016, 0x00022F16
.long 0x8E428128
.long 0x80504250
.long 0x82518051
.long 0xE070D000, 0x80141607
.long 0xBF800000
.long 0xD0CC0038, 0x0001004A
.long 0xD1000010, 0x00E220F2
.long 0xD1000011, 0x00E222F2
.long 0xD3B1401A, 0x18023510
.long 0xD3A0001A, 0x146A3031
.long 0xD3A0101B, 0x146E3031
.long 0xD3B2401A, 0x1802350E
.long 0x0A34343E
.long 0x0A3434FF, 0x4038AA3B
.long 0x7E34411A
.long 0xBF800000
.long 0x023434F2
.long 0x7E34451A
.long 0xBF800000
.long 0xD1CB001A, 0x03CA34F5
.long 0x0A34343F
.long 0x0A36363E
.long 0x0A3636FF, 0x4038AA3B
.long 0x7E36411B
.long 0xBF800000
.long 0x023636F2
.long 0x7E36451B
.long 0xBF800000
.long 0xD1CB001B, 0x03CA36F5
.long 0x0A36363F
.long 0x7E34151A
.long 0x7E36151B
.long 0xD2A0001A, 0x0002371A
.long 0x8E428128
.long 0x80504250
.long 0x82518051
	;; [unrolled: 33-line block ×3, first 2 shown]
.long 0xE070D000, 0x80141E07
.long 0xBF800000
.long 0xBF800000
	;; [unrolled: 1-line block ×3, first 2 shown]
.long 0xD1FE0008, 0x02060102
.long 0xE0501000, 0x80040C08
	;; [unrolled: 1-line block ×4, first 2 shown]
.long 0x24121282
.long 0xBF8CC07F
	;; [unrolled: 1-line block ×3, first 2 shown]
.long 0xD8EC0000, 0x0E000009
.long 0x24140082
.long 0xE0541000, 0x8012100A
.long 0x8E42812A
.long 0x80104210
.long 0x82118011
.long 0xE0501000, 0x80041408
.long 0x8E42812A
.long 0x80104210
	;; [unrolled: 4-line block ×3, first 2 shown]
.long 0x82118011
.long 0xE0501000, 0x80041C08
.long 0xD1FE0006, 0x020A0103
	;; [unrolled: 1-line block ×11, first 2 shown]
.long 0xBF800001
.long 0xE074D000, 0x80031206
.long 0x8E428228
.long 0x800C420C
.long 0x820D800D
.long 0xE074D000, 0x80031606
.long 0x8E428228
.long 0x800C420C
	;; [unrolled: 4-line block ×4, first 2 shown]
.long 0x92330454
.long 0x92411403
	;; [unrolled: 1-line block ×14, first 2 shown]
.long 0xC2330CCC, 0x00000000
.long 0x965B811C
.long 0x925A811C
	;; [unrolled: 1-line block ×15, first 2 shown]
.long 0x7E1602FF, 0x80000000
.long 0xBEDC0016
.long 0xBEDD0017
	;; [unrolled: 1-line block ×7, first 2 shown]
.long 0xE054D000, 0x80171206
.long 0xBE850032
.long 0x81858105
	;; [unrolled: 1-line block ×6, first 2 shown]
.long 0xE054D000, 0x80178006
.long 0x81858105
.long 0x805C565C
.long 0x825D575D
.long 0xBF008005
.long 0xBF850276
.long 0xE054D000, 0x80178806
.long 0x81858105
.long 0x805C565C
.long 0x825D575D
.long 0xBF008005
.long 0xBF850268
	;; [unrolled: 6-line block ×14, first 2 shown]
.long 0xE054D000, 0x8017F006
.long 0xBF8C0F7E
.long 0xD3B24012, 0x18030112
.long 0x81858105
.long 0xBF05CE05
.long 0xBF850217
.long 0x805C565C
.long 0x825D575D
.long 0xD0C60058, 0x00000A80
.long 0xD1000020, 0x01621706
.long 0xE054D000, 0x80178020
.long 0xBF8C0F7E
.long 0xD3B24012, 0x18031112
.long 0x81858105
.long 0xBF05CE05
.long 0xBF850209
.long 0x805C565C
.long 0x825D575D
.long 0xD0C60058, 0x00000A80
.long 0xD1000020, 0x01621706
	;; [unrolled: 10-line block ×15, first 2 shown]
.long 0xE054D000, 0x8017F020
.long 0xBF02CE05
.long 0xBF85FF2C
	;; [unrolled: 1-line block ×3, first 2 shown]
.long 0xD3B24012, 0x18030112
.long 0xBF8C0F7C
.long 0xD3B24012, 0x18031112
.long 0xBF8C0F7B
.long 0xD3B24012, 0x18032112
.long 0xBF8C0F7A
.long 0xD3B24012, 0x18033112
.long 0xBF8C0F79
.long 0xD3B24012, 0x18034112
.long 0xBF8C0F78
.long 0xD3B24012, 0x18035112
.long 0xBF8C0F77
.long 0xD3B24012, 0x18036112
.long 0xBF8C0F76
.long 0xD3B24012, 0x18037112
.long 0xBF8C0F75
.long 0xD3B24012, 0x18038112
.long 0xBF8C0F74
.long 0xD3B24012, 0x18039112
.long 0xBF8C0F73
.long 0xD3B24012, 0x1803A112
.long 0xBF8C0F72
.long 0xD3B24012, 0x1803B112
.long 0xBF8C0F71
.long 0xD3B24012, 0x1803C112
.long 0xBF8C0F70
.long 0xD3B24012, 0x1803D112
.long 0xBF82011E
.long 0xBF8C0F7C
.long 0xD3B24012, 0x18030112
.long 0xBF8C0F7B
.long 0xD3B24012, 0x18031112
	;; [unrolled: 2-line block ×13, first 2 shown]
.long 0xBF8200F6
.long 0xBF8C0F7B
.long 0xD3B24012, 0x18030112
.long 0xBF8C0F7A
.long 0xD3B24012, 0x18031112
	;; [unrolled: 2-line block ×12, first 2 shown]
.long 0xBF8200D1
.long 0xBF8C0F7A
.long 0xD3B24012, 0x18030112
.long 0xBF8C0F79
.long 0xD3B24012, 0x18031112
	;; [unrolled: 2-line block ×11, first 2 shown]
.long 0xBF8200AF
.long 0xBF8C0F79
.long 0xD3B24012, 0x18030112
.long 0xBF8C0F78
.long 0xD3B24012, 0x18031112
	;; [unrolled: 2-line block ×10, first 2 shown]
.long 0xBF820090
.long 0xBF8C0F78
.long 0xD3B24012, 0x18030112
.long 0xBF8C0F77
.long 0xD3B24012, 0x18031112
	;; [unrolled: 2-line block ×9, first 2 shown]
.long 0xBF820074
.long 0xBF8C0F77
.long 0xD3B24012, 0x18030112
.long 0xBF8C0F76
.long 0xD3B24012, 0x18031112
.long 0xBF8C0F75
.long 0xD3B24012, 0x18032112
.long 0xBF8C0F74
.long 0xD3B24012, 0x18033112
.long 0xBF8C0F73
.long 0xD3B24012, 0x18034112
.long 0xBF8C0F72
.long 0xD3B24012, 0x18035112
.long 0xBF8C0F71
.long 0xD3B24012, 0x18036112
.long 0xBF8C0F70
.long 0xD3B24012, 0x18037112
.long 0xBF82005B
.long 0xBF8C0F76
.long 0xD3B24012, 0x18030112
.long 0xBF8C0F75
.long 0xD3B24012, 0x18031112
	;; [unrolled: 2-line block ×7, first 2 shown]
.long 0xBF820045
.long 0xBF8C0F75
.long 0xD3B24012, 0x18030112
.long 0xBF8C0F74
.long 0xD3B24012, 0x18031112
	;; [unrolled: 2-line block ×6, first 2 shown]
.long 0xBF820032
.long 0xBF8C0F74
.long 0xD3B24012, 0x18030112
.long 0xBF8C0F73
.long 0xD3B24012, 0x18031112
	;; [unrolled: 2-line block ×5, first 2 shown]
.long 0xBF820022
.long 0xBF8C0F73
.long 0xD3B24012, 0x18030112
.long 0xBF8C0F72
.long 0xD3B24012, 0x18031112
	;; [unrolled: 2-line block ×4, first 2 shown]
.long 0xBF820015
.long 0xBF8C0F72
.long 0xD3B24012, 0x18030112
.long 0xBF8C0F71
.long 0xD3B24012, 0x18031112
	;; [unrolled: 2-line block ×3, first 2 shown]
.long 0xBF82000B
.long 0xBF8C0F71
.long 0xD3B24012, 0x18030112
.long 0xBF8C0F70
.long 0xD3B24012, 0x18031112
.long 0xBF820004
.long 0xBF8C0F70
.long 0xD3B24012, 0x18030112
.long 0xBF820000
.long 0x7E1602FF, 0x80000000
.long 0xBEDC0016
.long 0xBEDD0017
	;; [unrolled: 1-line block ×9, first 2 shown]
.long 0xE054D000, 0x80171606
.long 0xBE850032
.long 0x81858105
	;; [unrolled: 1-line block ×6, first 2 shown]
.long 0xE054D000, 0x80178006
.long 0x81858105
.long 0x805C565C
.long 0x825D575D
.long 0xBF008005
.long 0xBF850276
.long 0xE054D000, 0x80178806
.long 0x81858105
.long 0x805C565C
.long 0x825D575D
.long 0xBF008005
.long 0xBF850268
	;; [unrolled: 6-line block ×14, first 2 shown]
.long 0xE054D000, 0x8017F006
.long 0xBF8C0F7E
.long 0xD3B24016, 0x18030116
.long 0x81858105
.long 0xBF05CE05
.long 0xBF850217
.long 0x805C565C
.long 0x825D575D
.long 0xD0C60058, 0x00000A80
.long 0xD1000020, 0x01621706
.long 0xE054D000, 0x80178020
.long 0xBF8C0F7E
.long 0xD3B24016, 0x18031116
.long 0x81858105
.long 0xBF05CE05
.long 0xBF850209
.long 0x805C565C
.long 0x825D575D
.long 0xD0C60058, 0x00000A80
.long 0xD1000020, 0x01621706
	;; [unrolled: 10-line block ×15, first 2 shown]
.long 0xE054D000, 0x8017F020
.long 0xBF02CE05
.long 0xBF85FF2C
	;; [unrolled: 1-line block ×3, first 2 shown]
.long 0xD3B24016, 0x18030116
.long 0xBF8C0F7C
.long 0xD3B24016, 0x18031116
.long 0xBF8C0F7B
	;; [unrolled: 2-line block ×14, first 2 shown]
.long 0xBF8C0F7C
.long 0xD3B24016, 0x18030116
.long 0xBF8C0F7B
.long 0xD3B24016, 0x18031116
	;; [unrolled: 2-line block ×13, first 2 shown]
.long 0xBF8200F6
.long 0xBF8C0F7B
.long 0xD3B24016, 0x18030116
.long 0xBF8C0F7A
.long 0xD3B24016, 0x18031116
	;; [unrolled: 2-line block ×12, first 2 shown]
.long 0xBF8200D1
.long 0xBF8C0F7A
.long 0xD3B24016, 0x18030116
.long 0xBF8C0F79
.long 0xD3B24016, 0x18031116
	;; [unrolled: 2-line block ×11, first 2 shown]
.long 0xBF8200AF
.long 0xBF8C0F79
.long 0xD3B24016, 0x18030116
.long 0xBF8C0F78
.long 0xD3B24016, 0x18031116
	;; [unrolled: 2-line block ×10, first 2 shown]
.long 0xBF820090
.long 0xBF8C0F78
.long 0xD3B24016, 0x18030116
.long 0xBF8C0F77
.long 0xD3B24016, 0x18031116
	;; [unrolled: 2-line block ×9, first 2 shown]
.long 0xBF820074
.long 0xBF8C0F77
.long 0xD3B24016, 0x18030116
.long 0xBF8C0F76
.long 0xD3B24016, 0x18031116
	;; [unrolled: 2-line block ×8, first 2 shown]
.long 0xBF82005B
.long 0xBF8C0F76
.long 0xD3B24016, 0x18030116
.long 0xBF8C0F75
.long 0xD3B24016, 0x18031116
	;; [unrolled: 2-line block ×7, first 2 shown]
.long 0xBF820045
.long 0xBF8C0F75
.long 0xD3B24016, 0x18030116
.long 0xBF8C0F74
.long 0xD3B24016, 0x18031116
	;; [unrolled: 2-line block ×6, first 2 shown]
.long 0xBF820032
.long 0xBF8C0F74
.long 0xD3B24016, 0x18030116
.long 0xBF8C0F73
.long 0xD3B24016, 0x18031116
	;; [unrolled: 2-line block ×5, first 2 shown]
.long 0xBF820022
.long 0xBF8C0F73
.long 0xD3B24016, 0x18030116
.long 0xBF8C0F72
.long 0xD3B24016, 0x18031116
	;; [unrolled: 2-line block ×4, first 2 shown]
.long 0xBF820015
.long 0xBF8C0F72
.long 0xD3B24016, 0x18030116
.long 0xBF8C0F71
.long 0xD3B24016, 0x18031116
	;; [unrolled: 2-line block ×3, first 2 shown]
.long 0xBF82000B
.long 0xBF8C0F71
.long 0xD3B24016, 0x18030116
.long 0xBF8C0F70
.long 0xD3B24016, 0x18031116
.long 0xBF820004
.long 0xBF8C0F70
.long 0xD3B24016, 0x18030116
.long 0xBF820000
.long 0x7E1602FF, 0x80000000
.long 0xBEDC0016
.long 0xBEDD0017
.long 0xBEDE000E
.long 0xBEDF000F
.long 0x8E588228
.long 0x805C585C
.long 0x825D805D
.long 0x80165816
.long 0x82178017
.long 0xE054D000, 0x80171A06
.long 0xBE850032
.long 0x81858105
	;; [unrolled: 1-line block ×6, first 2 shown]
.long 0xE054D000, 0x80178006
.long 0x81858105
.long 0x805C565C
.long 0x825D575D
.long 0xBF008005
.long 0xBF850276
.long 0xE054D000, 0x80178806
.long 0x81858105
.long 0x805C565C
.long 0x825D575D
.long 0xBF008005
.long 0xBF850268
	;; [unrolled: 6-line block ×14, first 2 shown]
.long 0xE054D000, 0x8017F006
.long 0xBF8C0F7E
.long 0xD3B2401A, 0x1803011A
.long 0x81858105
.long 0xBF05CE05
.long 0xBF850217
.long 0x805C565C
.long 0x825D575D
.long 0xD0C60058, 0x00000A80
.long 0xD1000020, 0x01621706
.long 0xE054D000, 0x80178020
.long 0xBF8C0F7E
.long 0xD3B2401A, 0x1803111A
.long 0x81858105
.long 0xBF05CE05
.long 0xBF850209
.long 0x805C565C
.long 0x825D575D
.long 0xD0C60058, 0x00000A80
.long 0xD1000020, 0x01621706
	;; [unrolled: 10-line block ×15, first 2 shown]
.long 0xE054D000, 0x8017F020
.long 0xBF02CE05
.long 0xBF85FF2C
	;; [unrolled: 1-line block ×3, first 2 shown]
.long 0xD3B2401A, 0x1803011A
.long 0xBF8C0F7C
.long 0xD3B2401A, 0x1803111A
.long 0xBF8C0F7B
	;; [unrolled: 2-line block ×14, first 2 shown]
.long 0xBF8C0F7C
.long 0xD3B2401A, 0x1803011A
.long 0xBF8C0F7B
.long 0xD3B2401A, 0x1803111A
	;; [unrolled: 2-line block ×13, first 2 shown]
.long 0xBF8200F6
.long 0xBF8C0F7B
.long 0xD3B2401A, 0x1803011A
.long 0xBF8C0F7A
.long 0xD3B2401A, 0x1803111A
	;; [unrolled: 2-line block ×12, first 2 shown]
.long 0xBF8200D1
.long 0xBF8C0F7A
.long 0xD3B2401A, 0x1803011A
.long 0xBF8C0F79
.long 0xD3B2401A, 0x1803111A
.long 0xBF8C0F78
.long 0xD3B2401A, 0x1803211A
.long 0xBF8C0F77
.long 0xD3B2401A, 0x1803311A
.long 0xBF8C0F76
.long 0xD3B2401A, 0x1803411A
.long 0xBF8C0F75
.long 0xD3B2401A, 0x1803511A
.long 0xBF8C0F74
.long 0xD3B2401A, 0x1803611A
.long 0xBF8C0F73
.long 0xD3B2401A, 0x1803711A
.long 0xBF8C0F72
.long 0xD3B2401A, 0x1803811A
.long 0xBF8C0F71
.long 0xD3B2401A, 0x1803911A
.long 0xBF8C0F70
.long 0xD3B2401A, 0x1803A11A
.long 0xBF8200AF
.long 0xBF8C0F79
.long 0xD3B2401A, 0x1803011A
.long 0xBF8C0F78
.long 0xD3B2401A, 0x1803111A
	;; [unrolled: 2-line block ×10, first 2 shown]
.long 0xBF820090
.long 0xBF8C0F78
.long 0xD3B2401A, 0x1803011A
.long 0xBF8C0F77
.long 0xD3B2401A, 0x1803111A
	;; [unrolled: 2-line block ×9, first 2 shown]
.long 0xBF820074
.long 0xBF8C0F77
.long 0xD3B2401A, 0x1803011A
.long 0xBF8C0F76
.long 0xD3B2401A, 0x1803111A
	;; [unrolled: 2-line block ×8, first 2 shown]
.long 0xBF82005B
.long 0xBF8C0F76
.long 0xD3B2401A, 0x1803011A
.long 0xBF8C0F75
.long 0xD3B2401A, 0x1803111A
	;; [unrolled: 2-line block ×7, first 2 shown]
.long 0xBF820045
.long 0xBF8C0F75
.long 0xD3B2401A, 0x1803011A
.long 0xBF8C0F74
.long 0xD3B2401A, 0x1803111A
	;; [unrolled: 2-line block ×6, first 2 shown]
.long 0xBF820032
.long 0xBF8C0F74
.long 0xD3B2401A, 0x1803011A
.long 0xBF8C0F73
.long 0xD3B2401A, 0x1803111A
	;; [unrolled: 2-line block ×5, first 2 shown]
.long 0xBF820022
.long 0xBF8C0F73
.long 0xD3B2401A, 0x1803011A
.long 0xBF8C0F72
.long 0xD3B2401A, 0x1803111A
	;; [unrolled: 2-line block ×4, first 2 shown]
.long 0xBF820015
.long 0xBF8C0F72
.long 0xD3B2401A, 0x1803011A
.long 0xBF8C0F71
.long 0xD3B2401A, 0x1803111A
	;; [unrolled: 2-line block ×3, first 2 shown]
.long 0xBF82000B
.long 0xBF8C0F71
.long 0xD3B2401A, 0x1803011A
.long 0xBF8C0F70
.long 0xD3B2401A, 0x1803111A
.long 0xBF820004
.long 0xBF8C0F70
.long 0xD3B2401A, 0x1803011A
.long 0xBF820000
.long 0x7E1602FF, 0x80000000
.long 0xBEDC0016
.long 0xBEDD0017
	;; [unrolled: 1-line block ×9, first 2 shown]
.long 0xE054D000, 0x80171E06
.long 0xBE850032
.long 0x81858105
	;; [unrolled: 1-line block ×6, first 2 shown]
.long 0xE054D000, 0x80178006
.long 0x81858105
.long 0x805C565C
.long 0x825D575D
.long 0xBF008005
.long 0xBF850276
.long 0xE054D000, 0x80178806
.long 0x81858105
.long 0x805C565C
.long 0x825D575D
.long 0xBF008005
.long 0xBF850268
	;; [unrolled: 6-line block ×14, first 2 shown]
.long 0xE054D000, 0x8017F006
.long 0xBF8C0F7E
.long 0xD3B2401E, 0x1803011E
.long 0x81858105
.long 0xBF05CE05
.long 0xBF850217
.long 0x805C565C
.long 0x825D575D
.long 0xD0C60058, 0x00000A80
.long 0xD1000020, 0x01621706
.long 0xE054D000, 0x80178020
.long 0xBF8C0F7E
.long 0xD3B2401E, 0x1803111E
.long 0x81858105
.long 0xBF05CE05
.long 0xBF850209
.long 0x805C565C
.long 0x825D575D
.long 0xD0C60058, 0x00000A80
.long 0xD1000020, 0x01621706
	;; [unrolled: 10-line block ×15, first 2 shown]
.long 0xE054D000, 0x8017F020
.long 0xBF02CE05
.long 0xBF85FF2C
	;; [unrolled: 1-line block ×3, first 2 shown]
.long 0xD3B2401E, 0x1803011E
.long 0xBF8C0F7C
.long 0xD3B2401E, 0x1803111E
.long 0xBF8C0F7B
	;; [unrolled: 2-line block ×14, first 2 shown]
.long 0xBF8C0F7C
.long 0xD3B2401E, 0x1803011E
.long 0xBF8C0F7B
.long 0xD3B2401E, 0x1803111E
	;; [unrolled: 2-line block ×13, first 2 shown]
.long 0xBF8200F6
.long 0xBF8C0F7B
.long 0xD3B2401E, 0x1803011E
.long 0xBF8C0F7A
.long 0xD3B2401E, 0x1803111E
	;; [unrolled: 2-line block ×12, first 2 shown]
.long 0xBF8200D1
.long 0xBF8C0F7A
.long 0xD3B2401E, 0x1803011E
.long 0xBF8C0F79
.long 0xD3B2401E, 0x1803111E
	;; [unrolled: 2-line block ×11, first 2 shown]
.long 0xBF8200AF
.long 0xBF8C0F79
.long 0xD3B2401E, 0x1803011E
.long 0xBF8C0F78
.long 0xD3B2401E, 0x1803111E
	;; [unrolled: 2-line block ×10, first 2 shown]
.long 0xBF820090
.long 0xBF8C0F78
.long 0xD3B2401E, 0x1803011E
.long 0xBF8C0F77
.long 0xD3B2401E, 0x1803111E
	;; [unrolled: 2-line block ×9, first 2 shown]
.long 0xBF820074
.long 0xBF8C0F77
.long 0xD3B2401E, 0x1803011E
.long 0xBF8C0F76
.long 0xD3B2401E, 0x1803111E
	;; [unrolled: 2-line block ×8, first 2 shown]
.long 0xBF82005B
.long 0xBF8C0F76
.long 0xD3B2401E, 0x1803011E
.long 0xBF8C0F75
.long 0xD3B2401E, 0x1803111E
	;; [unrolled: 2-line block ×7, first 2 shown]
.long 0xBF820045
.long 0xBF8C0F75
.long 0xD3B2401E, 0x1803011E
.long 0xBF8C0F74
.long 0xD3B2401E, 0x1803111E
.long 0xBF8C0F73
.long 0xD3B2401E, 0x1803211E
.long 0xBF8C0F72
.long 0xD3B2401E, 0x1803311E
.long 0xBF8C0F71
.long 0xD3B2401E, 0x1803411E
.long 0xBF8C0F70
.long 0xD3B2401E, 0x1803511E
.long 0xBF820032
.long 0xBF8C0F74
.long 0xD3B2401E, 0x1803011E
.long 0xBF8C0F73
.long 0xD3B2401E, 0x1803111E
	;; [unrolled: 2-line block ×5, first 2 shown]
.long 0xBF820022
.long 0xBF8C0F73
.long 0xD3B2401E, 0x1803011E
.long 0xBF8C0F72
.long 0xD3B2401E, 0x1803111E
	;; [unrolled: 2-line block ×4, first 2 shown]
.long 0xBF820015
.long 0xBF8C0F72
.long 0xD3B2401E, 0x1803011E
.long 0xBF8C0F71
.long 0xD3B2401E, 0x1803111E
	;; [unrolled: 2-line block ×3, first 2 shown]
.long 0xBF82000B
.long 0xBF8C0F71
.long 0xD3B2401E, 0x1803011E
.long 0xBF8C0F70
.long 0xD3B2401E, 0x1803111E
.long 0xBF820004
.long 0xBF8C0F70
.long 0xD3B2401E, 0x1803011E
.long 0xBF820000
.long 0x0A242430
.long 0x0A262630
.long 0x0A2C2C30
.long 0x0A2E2E30
.long 0x0A343430
.long 0x0A363630
.long 0x0A3C3C30
.long 0x0A3E3E30
.long 0xD0CC0038, 0x0001004A
.long 0xD1000010, 0x00E220F2
	;; [unrolled: 1-line block ×9, first 2 shown]
.long 0x0A080912
.long 0x0A0808FF, 0x40135761
.long 0x7E084104
.long 0xBF800000
	;; [unrolled: 1-line block ×5, first 2 shown]
.long 0xD1CB0004, 0x03D208F5
.long 0x0A080912
.long 0x0A0808F0
	;; [unrolled: 1-line block ×3, first 2 shown]
.long 0x0A0826FF, 0x3D372713
.long 0xD1CB0004, 0x03CA0913
.long 0x0A080913
.long 0x0A0808FF, 0x40135761
.long 0x7E084104
.long 0xBF800000
	;; [unrolled: 1-line block ×5, first 2 shown]
.long 0xD1CB0004, 0x03D208F5
.long 0x0A080913
.long 0x0A0808F0
	;; [unrolled: 1-line block ×5, first 2 shown]
.long 0xD2A00012, 0x00022712
.long 0xE070D000, 0x80141207
.long 0xBF800000
.long 0xD0CC0038, 0x0001004A
.long 0xD1000010, 0x00E220F2
.long 0xD1000011, 0x00E222F2
.long 0xD3B14016, 0x18022D10
.long 0xD3A00016, 0x145A2831
.long 0xD3A01017, 0x145E2831
.long 0xD3B24016, 0x18022D0E
.long 0x0A082CFF, 0x3D372713
.long 0xD1CB0004, 0x03CA0916
.long 0x0A080916
.long 0x0A0808FF, 0x40135761
.long 0x7E084104
.long 0xBF800000
.long 0x020808F2
.long 0x7E084504
.long 0xBF800000
.long 0xD1CB0004, 0x03D208F5
.long 0x0A080916
.long 0x0A0808F0
.long 0x0A2C083E
.long 0x0A082EFF, 0x3D372713
.long 0xD1CB0004, 0x03CA0917
.long 0x0A080917
.long 0x0A0808FF, 0x40135761
.long 0x7E084104
.long 0xBF800000
.long 0x020808F2
.long 0x7E084504
.long 0xBF800000
.long 0xD1CB0004, 0x03D208F5
.long 0x0A080917
.long 0x0A0808F0
.long 0x0A2E083E
.long 0x7E2C1516
.long 0x7E2E1517
.long 0xD2A00016, 0x00022F16
.long 0x8E428128
.long 0x80504250
.long 0x82518051
.long 0xE070D000, 0x80141607
.long 0xBF800000
.long 0xD0CC0038, 0x0001004A
.long 0xD1000010, 0x00E220F2
.long 0xD1000011, 0x00E222F2
.long 0xD3B1401A, 0x18023510
.long 0xD3A0001A, 0x146A3031
.long 0xD3A0101B, 0x146E3031
.long 0xD3B2401A, 0x1802350E
.long 0x0A0834FF, 0x3D372713
.long 0xD1CB0004, 0x03CA091A
.long 0x0A08091A
.long 0x0A0808FF, 0x40135761
.long 0x7E084104
.long 0xBF800000
.long 0x020808F2
.long 0x7E084504
.long 0xBF800000
.long 0xD1CB0004, 0x03D208F5
.long 0x0A08091A
.long 0x0A0808F0
.long 0x0A34083E
.long 0x0A0836FF, 0x3D372713
.long 0xD1CB0004, 0x03CA091B
.long 0x0A08091B
.long 0x0A0808FF, 0x40135761
.long 0x7E084104
.long 0xBF800000
.long 0x020808F2
.long 0x7E084504
.long 0xBF800000
.long 0xD1CB0004, 0x03D208F5
.long 0x0A08091B
.long 0x0A0808F0
.long 0x0A36083E
.long 0x7E34151A
.long 0x7E36151B
.long 0xD2A0001A, 0x0002371A
.long 0x8E428128
.long 0x80504250
.long 0x82518051
	;; [unrolled: 41-line block ×3, first 2 shown]
.long 0xE070D000, 0x80141E07
.long 0xBF800000
.long 0xBF800000
	;; [unrolled: 1-line block ×3, first 2 shown]
.long 0x815684FF, 0x0001A1B0
.long 0x80545654
.long 0x82558055
.long 0xBE801D54
.long 0xB4400000
.long 0xBF850016
.long 0xB4400001
.long 0xBF850B77
.long 0xB4400002
.long 0xBF8516E8
.long 0xB4400003
.long 0xBF852264
.long 0xB4400004
.long 0xBF852E40
.long 0xB4400005
.long 0xBF8539BC
.long 0xB4400006
.long 0xBF854528
.long 0xB4400007
.long 0xBF8550BC
.long 0xB4400009
.long 0xBF840006
.long 0xBED41C00
.long 0x815684FF, 0x000171B8
.long 0x80545654
.long 0x82558055
	;; [unrolled: 1-line block ×3, first 2 shown]
.long 0x7E5402FF, 0x80000000
.long 0xD0C90054, 0x00003900
	;; [unrolled: 1-line block ×3, first 2 shown]
.long 0x86D85854
.long 0xD1FE0006, 0x02060102
.long 0xD1000006, 0x01620D2A
	;; [unrolled: 1-line block ×5, first 2 shown]
.long 0x24101082
.long 0xD1000008, 0x0162112A
.long 0xBF8CC07F
.long 0xBF8A0000
.long 0xD8EC0000, 0x0C000008
.long 0x24120082
.long 0xE0541000, 0x80120E09
.long 0xD1FE0006, 0x020A0103
.long 0xD1000006, 0x01620D2A
.long 0xD1FE0007, 0x02060103
.long 0xD1000007, 0x01620F2A
.long 0xD1196A01, 0x00010301
.long 0xD1340002, 0x00005502
.long 0xD1340003, 0x00005103
.long 0xD0C90054, 0x00003900
.long 0xD0C90058, 0x00003B01
.long 0x86D85854
.long 0xD1FE0012, 0x02060102
.long 0xD1000012, 0x0162252A
.long 0xE0501000, 0x80041612
.long 0x925402FF, 0x00000080
.long 0xD1350014, 0x0000A900
.long 0x24282882
.long 0xD1000014, 0x0162292A
.long 0x242A0082
.long 0xD1FE0012, 0x020A0103
.long 0xD1000012, 0x0162252A
.long 0xD1FE0013, 0x02060103
.long 0xD1000013, 0x0162272A
.long 0xD1196A01, 0x00010301
.long 0xD1340002, 0x00005502
.long 0xD1340003, 0x00005103
.long 0xD0C90054, 0x00003900
.long 0xD0C90058, 0x00003B01
.long 0x86D85854
.long 0xD1FE001A, 0x02060102
.long 0xD100001A, 0x0162352A
.long 0xE0501000, 0x80041E1A
.long 0x925402FF, 0x00000080
.long 0xD135001C, 0x0000A900
.long 0x24383882
.long 0xD100001C, 0x0162392A
.long 0x243A0082
.long 0xD1FE001A, 0x020A0103
.long 0xD100001A, 0x0162352A
.long 0xD1FE001B, 0x02060103
.long 0xD100001B, 0x0162372A
.long 0xD1196A01, 0x00010301
.long 0xD1340002, 0x00005502
.long 0xD1340003, 0x00005103
.long 0xD0C90054, 0x00003900
.long 0xD0C90058, 0x00003B01
	;; [unrolled: 18-line block ×3, first 2 shown]
.long 0xD3D84021, 0x18000106
.long 0xD3D84028, 0x18000103
	;; [unrolled: 1-line block ×3, first 2 shown]
.long 0xBF800001
.long 0xE074D000, 0x80031006
.long 0xE074D000, 0x80031812
	;; [unrolled: 1-line block ×4, first 2 shown]
.long 0xBF800000
.long 0x92421415
	;; [unrolled: 1-line block ×16, first 2 shown]
.long 0xC2330CCC, 0x00000000
.long 0x965F811C
.long 0x925E811C
	;; [unrolled: 1-line block ×15, first 2 shown]
.long 0x7E5402FF, 0x80000000
.long 0xBEE00016
.long 0xBEE10017
	;; [unrolled: 1-line block ×7, first 2 shown]
.long 0xE054D000, 0x80181006
.long 0xBE850032
.long 0x81858105
	;; [unrolled: 1-line block ×6, first 2 shown]
.long 0xE054D000, 0x80188006
.long 0x81858105
.long 0x80605A60
.long 0x82615B61
.long 0xBF008005
.long 0xBF850276
.long 0xE054D000, 0x80188806
.long 0x81858105
.long 0x80605A60
.long 0x82615B61
.long 0xBF008005
.long 0xBF850268
	;; [unrolled: 6-line block ×14, first 2 shown]
.long 0xE054D000, 0x8018F006
.long 0xBF8C0F7E
.long 0xD3B24010, 0x18030110
.long 0x81858105
.long 0xBF05CE05
.long 0xBF850217
.long 0x80605A60
.long 0x82615B61
.long 0xD0C6005C, 0x00000A80
.long 0xD100002B, 0x01725506
.long 0xE054D000, 0x8018802B
.long 0xBF8C0F7E
.long 0xD3B24010, 0x18031110
.long 0x81858105
.long 0xBF05CE05
.long 0xBF850209
.long 0x80605A60
.long 0x82615B61
.long 0xD0C6005C, 0x00000A80
.long 0xD100002B, 0x01725506
	;; [unrolled: 10-line block ×15, first 2 shown]
.long 0xE054D000, 0x8018F02B
.long 0xBF02CE05
.long 0xBF85FF2C
	;; [unrolled: 1-line block ×3, first 2 shown]
.long 0xD3B24010, 0x18030110
.long 0xBF8C0F7C
.long 0xD3B24010, 0x18031110
.long 0xBF8C0F7B
	;; [unrolled: 2-line block ×14, first 2 shown]
.long 0xBF8C0F7C
.long 0xD3B24010, 0x18030110
.long 0xBF8C0F7B
.long 0xD3B24010, 0x18031110
	;; [unrolled: 2-line block ×13, first 2 shown]
.long 0xBF8200F6
.long 0xBF8C0F7B
.long 0xD3B24010, 0x18030110
.long 0xBF8C0F7A
.long 0xD3B24010, 0x18031110
	;; [unrolled: 2-line block ×12, first 2 shown]
.long 0xBF8200D1
.long 0xBF8C0F7A
.long 0xD3B24010, 0x18030110
.long 0xBF8C0F79
.long 0xD3B24010, 0x18031110
	;; [unrolled: 2-line block ×11, first 2 shown]
.long 0xBF8200AF
.long 0xBF8C0F79
.long 0xD3B24010, 0x18030110
.long 0xBF8C0F78
.long 0xD3B24010, 0x18031110
	;; [unrolled: 2-line block ×10, first 2 shown]
.long 0xBF820090
.long 0xBF8C0F78
.long 0xD3B24010, 0x18030110
.long 0xBF8C0F77
.long 0xD3B24010, 0x18031110
	;; [unrolled: 2-line block ×9, first 2 shown]
.long 0xBF820074
.long 0xBF8C0F77
.long 0xD3B24010, 0x18030110
.long 0xBF8C0F76
.long 0xD3B24010, 0x18031110
	;; [unrolled: 2-line block ×8, first 2 shown]
.long 0xBF82005B
.long 0xBF8C0F76
.long 0xD3B24010, 0x18030110
.long 0xBF8C0F75
.long 0xD3B24010, 0x18031110
	;; [unrolled: 2-line block ×7, first 2 shown]
.long 0xBF820045
.long 0xBF8C0F75
.long 0xD3B24010, 0x18030110
.long 0xBF8C0F74
.long 0xD3B24010, 0x18031110
	;; [unrolled: 2-line block ×6, first 2 shown]
.long 0xBF820032
.long 0xBF8C0F74
.long 0xD3B24010, 0x18030110
.long 0xBF8C0F73
.long 0xD3B24010, 0x18031110
	;; [unrolled: 2-line block ×5, first 2 shown]
.long 0xBF820022
.long 0xBF8C0F73
.long 0xD3B24010, 0x18030110
.long 0xBF8C0F72
.long 0xD3B24010, 0x18031110
	;; [unrolled: 2-line block ×4, first 2 shown]
.long 0xBF820015
.long 0xBF8C0F72
.long 0xD3B24010, 0x18030110
.long 0xBF8C0F71
.long 0xD3B24010, 0x18031110
	;; [unrolled: 2-line block ×3, first 2 shown]
.long 0xBF82000B
.long 0xBF8C0F71
.long 0xD3B24010, 0x18030110
.long 0xBF8C0F70
.long 0xD3B24010, 0x18031110
.long 0xBF820004
.long 0xBF8C0F70
.long 0xD3B24010, 0x18030110
.long 0xBF820000
.long 0x7E5402FF, 0x80000000
.long 0xBEE00016
.long 0xBEE10017
	;; [unrolled: 1-line block ×4, first 2 shown]
.long 0xE054D000, 0x80181812
.long 0xBE850032
.long 0x81858105
	;; [unrolled: 1-line block ×6, first 2 shown]
.long 0xE054D000, 0x80188012
.long 0x81858105
.long 0x80605A60
.long 0x82615B61
.long 0xBF008005
.long 0xBF850276
.long 0xE054D000, 0x80188812
.long 0x81858105
.long 0x80605A60
.long 0x82615B61
.long 0xBF008005
.long 0xBF850268
	;; [unrolled: 6-line block ×14, first 2 shown]
.long 0xE054D000, 0x8018F012
.long 0xBF8C0F7E
.long 0xD3B24018, 0x18030118
.long 0x81858105
.long 0xBF05CE05
.long 0xBF850217
.long 0x80605A60
.long 0x82615B61
.long 0xD0C6005C, 0x00000A80
.long 0xD100002B, 0x01725512
.long 0xE054D000, 0x8018802B
.long 0xBF8C0F7E
.long 0xD3B24018, 0x18031118
.long 0x81858105
.long 0xBF05CE05
.long 0xBF850209
.long 0x80605A60
.long 0x82615B61
.long 0xD0C6005C, 0x00000A80
.long 0xD100002B, 0x01725512
	;; [unrolled: 10-line block ×15, first 2 shown]
.long 0xE054D000, 0x8018F02B
.long 0xBF02CE05
.long 0xBF85FF2C
	;; [unrolled: 1-line block ×3, first 2 shown]
.long 0xD3B24018, 0x18030118
.long 0xBF8C0F7C
.long 0xD3B24018, 0x18031118
.long 0xBF8C0F7B
.long 0xD3B24018, 0x18032118
.long 0xBF8C0F7A
.long 0xD3B24018, 0x18033118
.long 0xBF8C0F79
.long 0xD3B24018, 0x18034118
.long 0xBF8C0F78
.long 0xD3B24018, 0x18035118
.long 0xBF8C0F77
.long 0xD3B24018, 0x18036118
.long 0xBF8C0F76
.long 0xD3B24018, 0x18037118
.long 0xBF8C0F75
.long 0xD3B24018, 0x18038118
.long 0xBF8C0F74
.long 0xD3B24018, 0x18039118
.long 0xBF8C0F73
.long 0xD3B24018, 0x1803A118
.long 0xBF8C0F72
.long 0xD3B24018, 0x1803B118
.long 0xBF8C0F71
.long 0xD3B24018, 0x1803C118
.long 0xBF8C0F70
.long 0xD3B24018, 0x1803D118
.long 0xBF82011E
.long 0xBF8C0F7C
.long 0xD3B24018, 0x18030118
.long 0xBF8C0F7B
.long 0xD3B24018, 0x18031118
	;; [unrolled: 2-line block ×13, first 2 shown]
.long 0xBF8200F6
.long 0xBF8C0F7B
.long 0xD3B24018, 0x18030118
.long 0xBF8C0F7A
.long 0xD3B24018, 0x18031118
	;; [unrolled: 2-line block ×12, first 2 shown]
.long 0xBF8200D1
.long 0xBF8C0F7A
.long 0xD3B24018, 0x18030118
.long 0xBF8C0F79
.long 0xD3B24018, 0x18031118
.long 0xBF8C0F78
.long 0xD3B24018, 0x18032118
.long 0xBF8C0F77
.long 0xD3B24018, 0x18033118
.long 0xBF8C0F76
.long 0xD3B24018, 0x18034118
.long 0xBF8C0F75
.long 0xD3B24018, 0x18035118
.long 0xBF8C0F74
.long 0xD3B24018, 0x18036118
.long 0xBF8C0F73
.long 0xD3B24018, 0x18037118
.long 0xBF8C0F72
.long 0xD3B24018, 0x18038118
.long 0xBF8C0F71
.long 0xD3B24018, 0x18039118
.long 0xBF8C0F70
.long 0xD3B24018, 0x1803A118
.long 0xBF8200AF
.long 0xBF8C0F79
.long 0xD3B24018, 0x18030118
.long 0xBF8C0F78
.long 0xD3B24018, 0x18031118
.long 0xBF8C0F77
.long 0xD3B24018, 0x18032118
.long 0xBF8C0F76
.long 0xD3B24018, 0x18033118
.long 0xBF8C0F75
.long 0xD3B24018, 0x18034118
.long 0xBF8C0F74
.long 0xD3B24018, 0x18035118
.long 0xBF8C0F73
.long 0xD3B24018, 0x18036118
.long 0xBF8C0F72
.long 0xD3B24018, 0x18037118
.long 0xBF8C0F71
.long 0xD3B24018, 0x18038118
.long 0xBF8C0F70
.long 0xD3B24018, 0x18039118
.long 0xBF820090
.long 0xBF8C0F78
.long 0xD3B24018, 0x18030118
.long 0xBF8C0F77
.long 0xD3B24018, 0x18031118
	;; [unrolled: 2-line block ×9, first 2 shown]
.long 0xBF820074
.long 0xBF8C0F77
.long 0xD3B24018, 0x18030118
.long 0xBF8C0F76
.long 0xD3B24018, 0x18031118
	;; [unrolled: 2-line block ×8, first 2 shown]
.long 0xBF82005B
.long 0xBF8C0F76
.long 0xD3B24018, 0x18030118
.long 0xBF8C0F75
.long 0xD3B24018, 0x18031118
	;; [unrolled: 2-line block ×7, first 2 shown]
.long 0xBF820045
.long 0xBF8C0F75
.long 0xD3B24018, 0x18030118
.long 0xBF8C0F74
.long 0xD3B24018, 0x18031118
.long 0xBF8C0F73
.long 0xD3B24018, 0x18032118
.long 0xBF8C0F72
.long 0xD3B24018, 0x18033118
.long 0xBF8C0F71
.long 0xD3B24018, 0x18034118
.long 0xBF8C0F70
.long 0xD3B24018, 0x18035118
.long 0xBF820032
.long 0xBF8C0F74
.long 0xD3B24018, 0x18030118
.long 0xBF8C0F73
.long 0xD3B24018, 0x18031118
	;; [unrolled: 2-line block ×5, first 2 shown]
.long 0xBF820022
.long 0xBF8C0F73
.long 0xD3B24018, 0x18030118
.long 0xBF8C0F72
.long 0xD3B24018, 0x18031118
	;; [unrolled: 2-line block ×4, first 2 shown]
.long 0xBF820015
.long 0xBF8C0F72
.long 0xD3B24018, 0x18030118
.long 0xBF8C0F71
.long 0xD3B24018, 0x18031118
	;; [unrolled: 2-line block ×3, first 2 shown]
.long 0xBF82000B
.long 0xBF8C0F71
.long 0xD3B24018, 0x18030118
.long 0xBF8C0F70
.long 0xD3B24018, 0x18031118
.long 0xBF820004
.long 0xBF8C0F70
.long 0xD3B24018, 0x18030118
.long 0xBF820000
.long 0x7E5402FF, 0x80000000
.long 0xBEE00016
.long 0xBEE10017
	;; [unrolled: 1-line block ×4, first 2 shown]
.long 0xE054D000, 0x8018201A
.long 0xBE850032
.long 0x81858105
	;; [unrolled: 1-line block ×6, first 2 shown]
.long 0xE054D000, 0x8018801A
.long 0x81858105
.long 0x80605A60
.long 0x82615B61
.long 0xBF008005
.long 0xBF850276
.long 0xE054D000, 0x8018881A
.long 0x81858105
.long 0x80605A60
.long 0x82615B61
.long 0xBF008005
.long 0xBF850268
.long 0xE054D000, 0x8018901A
.long 0x81858105
.long 0x80605A60
.long 0x82615B61
.long 0xBF008005
.long 0xBF850257
.long 0xE054D000, 0x8018981A
.long 0x81858105
.long 0x80605A60
.long 0x82615B61
.long 0xBF008005
.long 0xBF850243
.long 0xE054D000, 0x8018A01A
.long 0x81858105
.long 0x80605A60
.long 0x82615B61
.long 0xBF008005
.long 0xBF85022C
.long 0xE054D000, 0x8018A81A
.long 0x81858105
.long 0x80605A60
.long 0x82615B61
.long 0xBF008005
.long 0xBF850212
.long 0xE054D000, 0x8018B01A
.long 0x81858105
.long 0x80605A60
.long 0x82615B61
.long 0xBF008005
.long 0xBF8501F5
.long 0xE054D000, 0x8018B81A
.long 0x81858105
.long 0x80605A60
.long 0x82615B61
.long 0xBF008005
.long 0xBF8501D5
.long 0xE054D000, 0x8018C01A
.long 0x81858105
.long 0x80605A60
.long 0x82615B61
.long 0xBF008005
.long 0xBF8501B2
.long 0xE054D000, 0x8018C81A
.long 0x81858105
.long 0x80605A60
.long 0x82615B61
.long 0xBF008005
.long 0xBF85018C
.long 0xE054D000, 0x8018D01A
.long 0x81858105
.long 0x80605A60
.long 0x82615B61
.long 0xBF008005
.long 0xBF850163
.long 0xE054D000, 0x8018D81A
.long 0x81858105
.long 0x80605A60
.long 0x82615B61
.long 0xBF008005
.long 0xBF850137
.long 0xE054D000, 0x8018E01A
.long 0x81858105
.long 0x80605A60
.long 0x82615B61
.long 0xBF008005
.long 0xBF850108
.long 0xE054D000, 0x8018E81A
.long 0x81858105
.long 0x80605A60
.long 0x82615B61
.long 0xBF008005
.long 0xBF8500D6
.long 0xE054D000, 0x8018F01A
.long 0xBF8C0F7E
.long 0xD3B24020, 0x18030120
.long 0x81858105
.long 0xBF05CE05
.long 0xBF850217
.long 0x80605A60
.long 0x82615B61
.long 0xD0C6005C, 0x00000A80
.long 0xD100002B, 0x0172551A
.long 0xE054D000, 0x8018802B
.long 0xBF8C0F7E
.long 0xD3B24020, 0x18031120
.long 0x81858105
.long 0xBF05CE05
.long 0xBF850209
.long 0x80605A60
.long 0x82615B61
.long 0xD0C6005C, 0x00000A80
.long 0xD100002B, 0x0172551A
	;; [unrolled: 10-line block ×15, first 2 shown]
.long 0xE054D000, 0x8018F02B
.long 0xBF02CE05
.long 0xBF85FF2C
	;; [unrolled: 1-line block ×3, first 2 shown]
.long 0xD3B24020, 0x18030120
.long 0xBF8C0F7C
.long 0xD3B24020, 0x18031120
.long 0xBF8C0F7B
	;; [unrolled: 2-line block ×14, first 2 shown]
.long 0xBF8C0F7C
.long 0xD3B24020, 0x18030120
.long 0xBF8C0F7B
.long 0xD3B24020, 0x18031120
	;; [unrolled: 2-line block ×13, first 2 shown]
.long 0xBF8200F6
.long 0xBF8C0F7B
.long 0xD3B24020, 0x18030120
.long 0xBF8C0F7A
.long 0xD3B24020, 0x18031120
	;; [unrolled: 2-line block ×12, first 2 shown]
.long 0xBF8200D1
.long 0xBF8C0F7A
.long 0xD3B24020, 0x18030120
.long 0xBF8C0F79
.long 0xD3B24020, 0x18031120
	;; [unrolled: 2-line block ×11, first 2 shown]
.long 0xBF8200AF
.long 0xBF8C0F79
.long 0xD3B24020, 0x18030120
.long 0xBF8C0F78
.long 0xD3B24020, 0x18031120
.long 0xBF8C0F77
.long 0xD3B24020, 0x18032120
.long 0xBF8C0F76
.long 0xD3B24020, 0x18033120
.long 0xBF8C0F75
.long 0xD3B24020, 0x18034120
.long 0xBF8C0F74
.long 0xD3B24020, 0x18035120
.long 0xBF8C0F73
.long 0xD3B24020, 0x18036120
.long 0xBF8C0F72
.long 0xD3B24020, 0x18037120
.long 0xBF8C0F71
.long 0xD3B24020, 0x18038120
.long 0xBF8C0F70
.long 0xD3B24020, 0x18039120
.long 0xBF820090
.long 0xBF8C0F78
.long 0xD3B24020, 0x18030120
.long 0xBF8C0F77
.long 0xD3B24020, 0x18031120
	;; [unrolled: 2-line block ×9, first 2 shown]
.long 0xBF820074
.long 0xBF8C0F77
.long 0xD3B24020, 0x18030120
.long 0xBF8C0F76
.long 0xD3B24020, 0x18031120
	;; [unrolled: 2-line block ×8, first 2 shown]
.long 0xBF82005B
.long 0xBF8C0F76
.long 0xD3B24020, 0x18030120
.long 0xBF8C0F75
.long 0xD3B24020, 0x18031120
	;; [unrolled: 2-line block ×7, first 2 shown]
.long 0xBF820045
.long 0xBF8C0F75
.long 0xD3B24020, 0x18030120
.long 0xBF8C0F74
.long 0xD3B24020, 0x18031120
	;; [unrolled: 2-line block ×6, first 2 shown]
.long 0xBF820032
.long 0xBF8C0F74
.long 0xD3B24020, 0x18030120
.long 0xBF8C0F73
.long 0xD3B24020, 0x18031120
	;; [unrolled: 2-line block ×5, first 2 shown]
.long 0xBF820022
.long 0xBF8C0F73
.long 0xD3B24020, 0x18030120
.long 0xBF8C0F72
.long 0xD3B24020, 0x18031120
	;; [unrolled: 2-line block ×4, first 2 shown]
.long 0xBF820015
.long 0xBF8C0F72
.long 0xD3B24020, 0x18030120
.long 0xBF8C0F71
.long 0xD3B24020, 0x18031120
	;; [unrolled: 2-line block ×3, first 2 shown]
.long 0xBF82000B
.long 0xBF8C0F71
.long 0xD3B24020, 0x18030120
.long 0xBF8C0F70
.long 0xD3B24020, 0x18031120
.long 0xBF820004
.long 0xBF8C0F70
.long 0xD3B24020, 0x18030120
.long 0xBF820000
.long 0x7E5402FF, 0x80000000
.long 0xBEE00016
.long 0xBEE10017
	;; [unrolled: 1-line block ×4, first 2 shown]
.long 0xE054D000, 0x80182822
.long 0xBE850032
.long 0x81858105
	;; [unrolled: 1-line block ×6, first 2 shown]
.long 0xE054D000, 0x80188022
.long 0x81858105
.long 0x80605A60
.long 0x82615B61
.long 0xBF008005
.long 0xBF850276
.long 0xE054D000, 0x80188822
.long 0x81858105
.long 0x80605A60
.long 0x82615B61
.long 0xBF008005
.long 0xBF850268
	;; [unrolled: 6-line block ×14, first 2 shown]
.long 0xE054D000, 0x8018F022
.long 0xBF8C0F7E
.long 0xD3B24028, 0x18030128
.long 0x81858105
.long 0xBF05CE05
.long 0xBF850217
.long 0x80605A60
.long 0x82615B61
.long 0xD0C6005C, 0x00000A80
.long 0xD100002B, 0x01725522
.long 0xE054D000, 0x8018802B
.long 0xBF8C0F7E
.long 0xD3B24028, 0x18031128
.long 0x81858105
.long 0xBF05CE05
.long 0xBF850209
.long 0x80605A60
.long 0x82615B61
.long 0xD0C6005C, 0x00000A80
.long 0xD100002B, 0x01725522
	;; [unrolled: 10-line block ×15, first 2 shown]
.long 0xE054D000, 0x8018F02B
.long 0xBF02CE05
.long 0xBF85FF2C
	;; [unrolled: 1-line block ×3, first 2 shown]
.long 0xD3B24028, 0x18030128
.long 0xBF8C0F7C
.long 0xD3B24028, 0x18031128
.long 0xBF8C0F7B
	;; [unrolled: 2-line block ×14, first 2 shown]
.long 0xBF8C0F7C
.long 0xD3B24028, 0x18030128
.long 0xBF8C0F7B
.long 0xD3B24028, 0x18031128
	;; [unrolled: 2-line block ×13, first 2 shown]
.long 0xBF8200F6
.long 0xBF8C0F7B
.long 0xD3B24028, 0x18030128
.long 0xBF8C0F7A
.long 0xD3B24028, 0x18031128
	;; [unrolled: 2-line block ×12, first 2 shown]
.long 0xBF8200D1
.long 0xBF8C0F7A
.long 0xD3B24028, 0x18030128
.long 0xBF8C0F79
.long 0xD3B24028, 0x18031128
	;; [unrolled: 2-line block ×11, first 2 shown]
.long 0xBF8200AF
.long 0xBF8C0F79
.long 0xD3B24028, 0x18030128
.long 0xBF8C0F78
.long 0xD3B24028, 0x18031128
	;; [unrolled: 2-line block ×10, first 2 shown]
.long 0xBF820090
.long 0xBF8C0F78
.long 0xD3B24028, 0x18030128
.long 0xBF8C0F77
.long 0xD3B24028, 0x18031128
	;; [unrolled: 2-line block ×9, first 2 shown]
.long 0xBF820074
.long 0xBF8C0F77
.long 0xD3B24028, 0x18030128
.long 0xBF8C0F76
.long 0xD3B24028, 0x18031128
	;; [unrolled: 2-line block ×8, first 2 shown]
.long 0xBF82005B
.long 0xBF8C0F76
.long 0xD3B24028, 0x18030128
.long 0xBF8C0F75
.long 0xD3B24028, 0x18031128
.long 0xBF8C0F74
.long 0xD3B24028, 0x18032128
.long 0xBF8C0F73
.long 0xD3B24028, 0x18033128
.long 0xBF8C0F72
.long 0xD3B24028, 0x18034128
.long 0xBF8C0F71
.long 0xD3B24028, 0x18035128
.long 0xBF8C0F70
.long 0xD3B24028, 0x18036128
.long 0xBF820045
.long 0xBF8C0F75
.long 0xD3B24028, 0x18030128
.long 0xBF8C0F74
.long 0xD3B24028, 0x18031128
	;; [unrolled: 2-line block ×6, first 2 shown]
.long 0xBF820032
.long 0xBF8C0F74
.long 0xD3B24028, 0x18030128
.long 0xBF8C0F73
.long 0xD3B24028, 0x18031128
	;; [unrolled: 2-line block ×5, first 2 shown]
.long 0xBF820022
.long 0xBF8C0F73
.long 0xD3B24028, 0x18030128
.long 0xBF8C0F72
.long 0xD3B24028, 0x18031128
	;; [unrolled: 2-line block ×4, first 2 shown]
.long 0xBF820015
.long 0xBF8C0F72
.long 0xD3B24028, 0x18030128
.long 0xBF8C0F71
.long 0xD3B24028, 0x18031128
	;; [unrolled: 2-line block ×3, first 2 shown]
.long 0xBF82000B
.long 0xBF8C0F71
.long 0xD3B24028, 0x18030128
.long 0xBF8C0F70
.long 0xD3B24028, 0x18031128
.long 0xBF820004
.long 0xBF8C0F70
.long 0xD3B24028, 0x18030128
.long 0xBF820000
.long 0x0A202030
	;; [unrolled: 1-line block ×10, first 2 shown]
.long 0xD0CC0038, 0x0001004A
.long 0xD100000E, 0x00E21CF2
.long 0xD100000F, 0x00E21EF2
.long 0xD3B14010, 0x1802210E
.long 0xD3A00010, 0x14421431
.long 0xD3A01011, 0x14461431
.long 0xD3B24010, 0x1802210C
.long 0x7E201510
.long 0x7E221511
.long 0xD2A00010, 0x00022310
.long 0xE070D000, 0x80141007
.long 0xBF800000
.long 0xD0CC0038, 0x0001004A
.long 0xD100000E, 0x00E21CF2
.long 0xD100000F, 0x00E21EF2
.long 0xD3B14018, 0x1802310E
.long 0xD3A00018, 0x14622C31
.long 0xD3A01019, 0x14662C31
.long 0xD3B24018, 0x1802310C
.long 0x7E301518
.long 0x7E321519
.long 0xD2A00018, 0x00023318
.long 0xE070D000, 0x80141813
.long 0xBF800000
	;; [unrolled: 12-line block ×4, first 2 shown]
.long 0xBF800000
.long 0xBED41C00
.long 0x815684FF, 0x000173C0
.long 0x80545654
.long 0x82558055
	;; [unrolled: 1-line block ×3, first 2 shown]
.long 0x7E5402FF, 0x80000000
.long 0xD0C90054, 0x00003900
	;; [unrolled: 1-line block ×3, first 2 shown]
.long 0x86D85854
.long 0xD1FE0006, 0x02060102
.long 0xD1000006, 0x01620D2A
	;; [unrolled: 1-line block ×5, first 2 shown]
.long 0x24101082
.long 0xD1000008, 0x0162112A
.long 0xBF8CC07F
.long 0xBF8A0000
.long 0xD8EC0000, 0x0C000008
.long 0x24120082
.long 0xE0541000, 0x80120E09
.long 0xD1FE0006, 0x020A0103
	;; [unrolled: 1-line block ×10, first 2 shown]
.long 0x86D85854
.long 0xD1FE0012, 0x02060102
.long 0xD1000012, 0x0162252A
.long 0xE0501000, 0x80041612
.long 0x925402FF, 0x00000080
.long 0xD1350014, 0x0000A900
.long 0x24282882
.long 0xD1000014, 0x0162292A
.long 0x242A0082
.long 0xD1FE0012, 0x020A0103
.long 0xD1000012, 0x0162252A
.long 0xD1FE0013, 0x02060103
.long 0xD1000013, 0x0162272A
.long 0xD1196A01, 0x00010301
.long 0xD1340002, 0x00005502
.long 0xD1340003, 0x00005103
.long 0xD0C90054, 0x00003900
.long 0xD0C90058, 0x00003B01
.long 0x86D85854
.long 0xD1FE001A, 0x02060102
.long 0xD100001A, 0x0162352A
.long 0xE0501000, 0x80041E1A
.long 0x925402FF, 0x00000080
.long 0xD135001C, 0x0000A900
.long 0x24383882
.long 0xD100001C, 0x0162392A
.long 0x243A0082
.long 0xD1FE001A, 0x020A0103
.long 0xD100001A, 0x0162352A
.long 0xD1FE001B, 0x02060103
.long 0xD100001B, 0x0162372A
.long 0xD1196A01, 0x00010301
.long 0xD1340002, 0x00005502
.long 0xD1340003, 0x00005103
.long 0xD0C90054, 0x00003900
.long 0xD0C90058, 0x00003B01
	;; [unrolled: 18-line block ×3, first 2 shown]
.long 0xD3D84021, 0x18000106
.long 0xD3D84028, 0x18000103
	;; [unrolled: 1-line block ×3, first 2 shown]
.long 0xBF800001
.long 0xE074D000, 0x80031006
.long 0xE074D000, 0x80031812
	;; [unrolled: 1-line block ×4, first 2 shown]
.long 0xBF800000
.long 0x92421415
	;; [unrolled: 1-line block ×16, first 2 shown]
.long 0xC2330CCC, 0x00000000
.long 0x965F811C
.long 0x925E811C
	;; [unrolled: 1-line block ×15, first 2 shown]
.long 0x7E5402FF, 0x80000000
.long 0xBEE00016
.long 0xBEE10017
	;; [unrolled: 1-line block ×7, first 2 shown]
.long 0xE054D000, 0x80181006
.long 0xBE850032
.long 0x81858105
	;; [unrolled: 1-line block ×6, first 2 shown]
.long 0xE054D000, 0x80188006
.long 0x81858105
.long 0x80605A60
.long 0x82615B61
.long 0xBF008005
.long 0xBF850276
.long 0xE054D000, 0x80188806
.long 0x81858105
.long 0x80605A60
.long 0x82615B61
.long 0xBF008005
.long 0xBF850268
	;; [unrolled: 6-line block ×14, first 2 shown]
.long 0xE054D000, 0x8018F006
.long 0xBF8C0F7E
.long 0xD3B24010, 0x18030110
.long 0x81858105
.long 0xBF05CE05
.long 0xBF850217
.long 0x80605A60
.long 0x82615B61
.long 0xD0C6005C, 0x00000A80
.long 0xD100002B, 0x01725506
.long 0xE054D000, 0x8018802B
.long 0xBF8C0F7E
.long 0xD3B24010, 0x18031110
.long 0x81858105
.long 0xBF05CE05
.long 0xBF850209
.long 0x80605A60
.long 0x82615B61
.long 0xD0C6005C, 0x00000A80
.long 0xD100002B, 0x01725506
	;; [unrolled: 10-line block ×15, first 2 shown]
.long 0xE054D000, 0x8018F02B
.long 0xBF02CE05
.long 0xBF85FF2C
	;; [unrolled: 1-line block ×3, first 2 shown]
.long 0xD3B24010, 0x18030110
.long 0xBF8C0F7C
.long 0xD3B24010, 0x18031110
.long 0xBF8C0F7B
	;; [unrolled: 2-line block ×14, first 2 shown]
.long 0xBF8C0F7C
.long 0xD3B24010, 0x18030110
.long 0xBF8C0F7B
.long 0xD3B24010, 0x18031110
	;; [unrolled: 2-line block ×13, first 2 shown]
.long 0xBF8200F6
.long 0xBF8C0F7B
.long 0xD3B24010, 0x18030110
.long 0xBF8C0F7A
.long 0xD3B24010, 0x18031110
	;; [unrolled: 2-line block ×12, first 2 shown]
.long 0xBF8200D1
.long 0xBF8C0F7A
.long 0xD3B24010, 0x18030110
.long 0xBF8C0F79
.long 0xD3B24010, 0x18031110
	;; [unrolled: 2-line block ×11, first 2 shown]
.long 0xBF8200AF
.long 0xBF8C0F79
.long 0xD3B24010, 0x18030110
.long 0xBF8C0F78
.long 0xD3B24010, 0x18031110
	;; [unrolled: 2-line block ×10, first 2 shown]
.long 0xBF820090
.long 0xBF8C0F78
.long 0xD3B24010, 0x18030110
.long 0xBF8C0F77
.long 0xD3B24010, 0x18031110
	;; [unrolled: 2-line block ×9, first 2 shown]
.long 0xBF820074
.long 0xBF8C0F77
.long 0xD3B24010, 0x18030110
.long 0xBF8C0F76
.long 0xD3B24010, 0x18031110
	;; [unrolled: 2-line block ×8, first 2 shown]
.long 0xBF82005B
.long 0xBF8C0F76
.long 0xD3B24010, 0x18030110
.long 0xBF8C0F75
.long 0xD3B24010, 0x18031110
	;; [unrolled: 2-line block ×7, first 2 shown]
.long 0xBF820045
.long 0xBF8C0F75
.long 0xD3B24010, 0x18030110
.long 0xBF8C0F74
.long 0xD3B24010, 0x18031110
	;; [unrolled: 2-line block ×6, first 2 shown]
.long 0xBF820032
.long 0xBF8C0F74
.long 0xD3B24010, 0x18030110
.long 0xBF8C0F73
.long 0xD3B24010, 0x18031110
	;; [unrolled: 2-line block ×5, first 2 shown]
.long 0xBF820022
.long 0xBF8C0F73
.long 0xD3B24010, 0x18030110
.long 0xBF8C0F72
.long 0xD3B24010, 0x18031110
	;; [unrolled: 2-line block ×4, first 2 shown]
.long 0xBF820015
.long 0xBF8C0F72
.long 0xD3B24010, 0x18030110
.long 0xBF8C0F71
.long 0xD3B24010, 0x18031110
	;; [unrolled: 2-line block ×3, first 2 shown]
.long 0xBF82000B
.long 0xBF8C0F71
.long 0xD3B24010, 0x18030110
.long 0xBF8C0F70
.long 0xD3B24010, 0x18031110
.long 0xBF820004
.long 0xBF8C0F70
.long 0xD3B24010, 0x18030110
.long 0xBF820000
.long 0x7E5402FF, 0x80000000
.long 0xBEE00016
.long 0xBEE10017
	;; [unrolled: 1-line block ×4, first 2 shown]
.long 0xE054D000, 0x80181812
.long 0xBE850032
.long 0x81858105
	;; [unrolled: 1-line block ×6, first 2 shown]
.long 0xE054D000, 0x80188012
.long 0x81858105
.long 0x80605A60
.long 0x82615B61
.long 0xBF008005
.long 0xBF850276
.long 0xE054D000, 0x80188812
.long 0x81858105
.long 0x80605A60
.long 0x82615B61
.long 0xBF008005
.long 0xBF850268
	;; [unrolled: 6-line block ×14, first 2 shown]
.long 0xE054D000, 0x8018F012
.long 0xBF8C0F7E
.long 0xD3B24018, 0x18030118
.long 0x81858105
.long 0xBF05CE05
.long 0xBF850217
.long 0x80605A60
.long 0x82615B61
.long 0xD0C6005C, 0x00000A80
.long 0xD100002B, 0x01725512
.long 0xE054D000, 0x8018802B
.long 0xBF8C0F7E
.long 0xD3B24018, 0x18031118
.long 0x81858105
.long 0xBF05CE05
.long 0xBF850209
.long 0x80605A60
.long 0x82615B61
.long 0xD0C6005C, 0x00000A80
.long 0xD100002B, 0x01725512
	;; [unrolled: 10-line block ×15, first 2 shown]
.long 0xE054D000, 0x8018F02B
.long 0xBF02CE05
.long 0xBF85FF2C
	;; [unrolled: 1-line block ×3, first 2 shown]
.long 0xD3B24018, 0x18030118
.long 0xBF8C0F7C
.long 0xD3B24018, 0x18031118
.long 0xBF8C0F7B
	;; [unrolled: 2-line block ×14, first 2 shown]
.long 0xBF8C0F7C
.long 0xD3B24018, 0x18030118
.long 0xBF8C0F7B
.long 0xD3B24018, 0x18031118
	;; [unrolled: 2-line block ×13, first 2 shown]
.long 0xBF8200F6
.long 0xBF8C0F7B
.long 0xD3B24018, 0x18030118
.long 0xBF8C0F7A
.long 0xD3B24018, 0x18031118
	;; [unrolled: 2-line block ×12, first 2 shown]
.long 0xBF8200D1
.long 0xBF8C0F7A
.long 0xD3B24018, 0x18030118
.long 0xBF8C0F79
.long 0xD3B24018, 0x18031118
	;; [unrolled: 2-line block ×11, first 2 shown]
.long 0xBF8200AF
.long 0xBF8C0F79
.long 0xD3B24018, 0x18030118
.long 0xBF8C0F78
.long 0xD3B24018, 0x18031118
	;; [unrolled: 2-line block ×10, first 2 shown]
.long 0xBF820090
.long 0xBF8C0F78
.long 0xD3B24018, 0x18030118
.long 0xBF8C0F77
.long 0xD3B24018, 0x18031118
	;; [unrolled: 2-line block ×9, first 2 shown]
.long 0xBF820074
.long 0xBF8C0F77
.long 0xD3B24018, 0x18030118
.long 0xBF8C0F76
.long 0xD3B24018, 0x18031118
	;; [unrolled: 2-line block ×8, first 2 shown]
.long 0xBF82005B
.long 0xBF8C0F76
.long 0xD3B24018, 0x18030118
.long 0xBF8C0F75
.long 0xD3B24018, 0x18031118
	;; [unrolled: 2-line block ×7, first 2 shown]
.long 0xBF820045
.long 0xBF8C0F75
.long 0xD3B24018, 0x18030118
.long 0xBF8C0F74
.long 0xD3B24018, 0x18031118
.long 0xBF8C0F73
.long 0xD3B24018, 0x18032118
.long 0xBF8C0F72
.long 0xD3B24018, 0x18033118
.long 0xBF8C0F71
.long 0xD3B24018, 0x18034118
.long 0xBF8C0F70
.long 0xD3B24018, 0x18035118
.long 0xBF820032
.long 0xBF8C0F74
.long 0xD3B24018, 0x18030118
.long 0xBF8C0F73
.long 0xD3B24018, 0x18031118
	;; [unrolled: 2-line block ×5, first 2 shown]
.long 0xBF820022
.long 0xBF8C0F73
.long 0xD3B24018, 0x18030118
.long 0xBF8C0F72
.long 0xD3B24018, 0x18031118
	;; [unrolled: 2-line block ×4, first 2 shown]
.long 0xBF820015
.long 0xBF8C0F72
.long 0xD3B24018, 0x18030118
.long 0xBF8C0F71
.long 0xD3B24018, 0x18031118
	;; [unrolled: 2-line block ×3, first 2 shown]
.long 0xBF82000B
.long 0xBF8C0F71
.long 0xD3B24018, 0x18030118
.long 0xBF8C0F70
.long 0xD3B24018, 0x18031118
.long 0xBF820004
.long 0xBF8C0F70
.long 0xD3B24018, 0x18030118
.long 0xBF820000
.long 0x7E5402FF, 0x80000000
.long 0xBEE00016
.long 0xBEE10017
	;; [unrolled: 1-line block ×4, first 2 shown]
.long 0xE054D000, 0x8018201A
.long 0xBE850032
.long 0x81858105
	;; [unrolled: 1-line block ×6, first 2 shown]
.long 0xE054D000, 0x8018801A
.long 0x81858105
.long 0x80605A60
.long 0x82615B61
.long 0xBF008005
.long 0xBF850276
.long 0xE054D000, 0x8018881A
.long 0x81858105
.long 0x80605A60
.long 0x82615B61
.long 0xBF008005
.long 0xBF850268
	;; [unrolled: 6-line block ×14, first 2 shown]
.long 0xE054D000, 0x8018F01A
.long 0xBF8C0F7E
.long 0xD3B24020, 0x18030120
.long 0x81858105
.long 0xBF05CE05
.long 0xBF850217
.long 0x80605A60
.long 0x82615B61
.long 0xD0C6005C, 0x00000A80
.long 0xD100002B, 0x0172551A
.long 0xE054D000, 0x8018802B
.long 0xBF8C0F7E
.long 0xD3B24020, 0x18031120
.long 0x81858105
.long 0xBF05CE05
.long 0xBF850209
.long 0x80605A60
.long 0x82615B61
.long 0xD0C6005C, 0x00000A80
.long 0xD100002B, 0x0172551A
	;; [unrolled: 10-line block ×15, first 2 shown]
.long 0xE054D000, 0x8018F02B
.long 0xBF02CE05
.long 0xBF85FF2C
	;; [unrolled: 1-line block ×3, first 2 shown]
.long 0xD3B24020, 0x18030120
.long 0xBF8C0F7C
.long 0xD3B24020, 0x18031120
.long 0xBF8C0F7B
	;; [unrolled: 2-line block ×14, first 2 shown]
.long 0xBF8C0F7C
.long 0xD3B24020, 0x18030120
.long 0xBF8C0F7B
.long 0xD3B24020, 0x18031120
	;; [unrolled: 2-line block ×13, first 2 shown]
.long 0xBF8200F6
.long 0xBF8C0F7B
.long 0xD3B24020, 0x18030120
.long 0xBF8C0F7A
.long 0xD3B24020, 0x18031120
	;; [unrolled: 2-line block ×12, first 2 shown]
.long 0xBF8200D1
.long 0xBF8C0F7A
.long 0xD3B24020, 0x18030120
.long 0xBF8C0F79
.long 0xD3B24020, 0x18031120
.long 0xBF8C0F78
.long 0xD3B24020, 0x18032120
.long 0xBF8C0F77
.long 0xD3B24020, 0x18033120
.long 0xBF8C0F76
.long 0xD3B24020, 0x18034120
.long 0xBF8C0F75
.long 0xD3B24020, 0x18035120
.long 0xBF8C0F74
.long 0xD3B24020, 0x18036120
.long 0xBF8C0F73
.long 0xD3B24020, 0x18037120
.long 0xBF8C0F72
.long 0xD3B24020, 0x18038120
.long 0xBF8C0F71
.long 0xD3B24020, 0x18039120
.long 0xBF8C0F70
.long 0xD3B24020, 0x1803A120
.long 0xBF8200AF
.long 0xBF8C0F79
.long 0xD3B24020, 0x18030120
.long 0xBF8C0F78
.long 0xD3B24020, 0x18031120
	;; [unrolled: 2-line block ×10, first 2 shown]
.long 0xBF820090
.long 0xBF8C0F78
.long 0xD3B24020, 0x18030120
.long 0xBF8C0F77
.long 0xD3B24020, 0x18031120
	;; [unrolled: 2-line block ×9, first 2 shown]
.long 0xBF820074
.long 0xBF8C0F77
.long 0xD3B24020, 0x18030120
.long 0xBF8C0F76
.long 0xD3B24020, 0x18031120
	;; [unrolled: 2-line block ×8, first 2 shown]
.long 0xBF82005B
.long 0xBF8C0F76
.long 0xD3B24020, 0x18030120
.long 0xBF8C0F75
.long 0xD3B24020, 0x18031120
.long 0xBF8C0F74
.long 0xD3B24020, 0x18032120
.long 0xBF8C0F73
.long 0xD3B24020, 0x18033120
.long 0xBF8C0F72
.long 0xD3B24020, 0x18034120
.long 0xBF8C0F71
.long 0xD3B24020, 0x18035120
.long 0xBF8C0F70
.long 0xD3B24020, 0x18036120
.long 0xBF820045
.long 0xBF8C0F75
.long 0xD3B24020, 0x18030120
.long 0xBF8C0F74
.long 0xD3B24020, 0x18031120
	;; [unrolled: 2-line block ×6, first 2 shown]
.long 0xBF820032
.long 0xBF8C0F74
.long 0xD3B24020, 0x18030120
.long 0xBF8C0F73
.long 0xD3B24020, 0x18031120
	;; [unrolled: 2-line block ×5, first 2 shown]
.long 0xBF820022
.long 0xBF8C0F73
.long 0xD3B24020, 0x18030120
.long 0xBF8C0F72
.long 0xD3B24020, 0x18031120
	;; [unrolled: 2-line block ×4, first 2 shown]
.long 0xBF820015
.long 0xBF8C0F72
.long 0xD3B24020, 0x18030120
.long 0xBF8C0F71
.long 0xD3B24020, 0x18031120
	;; [unrolled: 2-line block ×3, first 2 shown]
.long 0xBF82000B
.long 0xBF8C0F71
.long 0xD3B24020, 0x18030120
.long 0xBF8C0F70
.long 0xD3B24020, 0x18031120
.long 0xBF820004
.long 0xBF8C0F70
.long 0xD3B24020, 0x18030120
.long 0xBF820000
.long 0x7E5402FF, 0x80000000
.long 0xBEE00016
.long 0xBEE10017
	;; [unrolled: 1-line block ×4, first 2 shown]
.long 0xE054D000, 0x80182822
.long 0xBE850032
.long 0x81858105
	;; [unrolled: 1-line block ×6, first 2 shown]
.long 0xE054D000, 0x80188022
.long 0x81858105
.long 0x80605A60
.long 0x82615B61
.long 0xBF008005
.long 0xBF850276
.long 0xE054D000, 0x80188822
.long 0x81858105
.long 0x80605A60
.long 0x82615B61
.long 0xBF008005
.long 0xBF850268
	;; [unrolled: 6-line block ×14, first 2 shown]
.long 0xE054D000, 0x8018F022
.long 0xBF8C0F7E
.long 0xD3B24028, 0x18030128
.long 0x81858105
.long 0xBF05CE05
.long 0xBF850217
.long 0x80605A60
.long 0x82615B61
.long 0xD0C6005C, 0x00000A80
.long 0xD100002B, 0x01725522
.long 0xE054D000, 0x8018802B
.long 0xBF8C0F7E
.long 0xD3B24028, 0x18031128
.long 0x81858105
.long 0xBF05CE05
.long 0xBF850209
.long 0x80605A60
.long 0x82615B61
.long 0xD0C6005C, 0x00000A80
.long 0xD100002B, 0x01725522
	;; [unrolled: 10-line block ×15, first 2 shown]
.long 0xE054D000, 0x8018F02B
.long 0xBF02CE05
.long 0xBF85FF2C
	;; [unrolled: 1-line block ×3, first 2 shown]
.long 0xD3B24028, 0x18030128
.long 0xBF8C0F7C
.long 0xD3B24028, 0x18031128
.long 0xBF8C0F7B
	;; [unrolled: 2-line block ×14, first 2 shown]
.long 0xBF8C0F7C
.long 0xD3B24028, 0x18030128
.long 0xBF8C0F7B
.long 0xD3B24028, 0x18031128
	;; [unrolled: 2-line block ×13, first 2 shown]
.long 0xBF8200F6
.long 0xBF8C0F7B
.long 0xD3B24028, 0x18030128
.long 0xBF8C0F7A
.long 0xD3B24028, 0x18031128
	;; [unrolled: 2-line block ×12, first 2 shown]
.long 0xBF8200D1
.long 0xBF8C0F7A
.long 0xD3B24028, 0x18030128
.long 0xBF8C0F79
.long 0xD3B24028, 0x18031128
	;; [unrolled: 2-line block ×11, first 2 shown]
.long 0xBF8200AF
.long 0xBF8C0F79
.long 0xD3B24028, 0x18030128
.long 0xBF8C0F78
.long 0xD3B24028, 0x18031128
.long 0xBF8C0F77
.long 0xD3B24028, 0x18032128
.long 0xBF8C0F76
.long 0xD3B24028, 0x18033128
.long 0xBF8C0F75
.long 0xD3B24028, 0x18034128
.long 0xBF8C0F74
.long 0xD3B24028, 0x18035128
.long 0xBF8C0F73
.long 0xD3B24028, 0x18036128
.long 0xBF8C0F72
.long 0xD3B24028, 0x18037128
.long 0xBF8C0F71
.long 0xD3B24028, 0x18038128
.long 0xBF8C0F70
.long 0xD3B24028, 0x18039128
.long 0xBF820090
.long 0xBF8C0F78
.long 0xD3B24028, 0x18030128
.long 0xBF8C0F77
.long 0xD3B24028, 0x18031128
.long 0xBF8C0F76
.long 0xD3B24028, 0x18032128
.long 0xBF8C0F75
.long 0xD3B24028, 0x18033128
.long 0xBF8C0F74
.long 0xD3B24028, 0x18034128
.long 0xBF8C0F73
.long 0xD3B24028, 0x18035128
.long 0xBF8C0F72
.long 0xD3B24028, 0x18036128
.long 0xBF8C0F71
.long 0xD3B24028, 0x18037128
.long 0xBF8C0F70
.long 0xD3B24028, 0x18038128
.long 0xBF820074
.long 0xBF8C0F77
.long 0xD3B24028, 0x18030128
.long 0xBF8C0F76
.long 0xD3B24028, 0x18031128
	;; [unrolled: 2-line block ×8, first 2 shown]
.long 0xBF82005B
.long 0xBF8C0F76
.long 0xD3B24028, 0x18030128
.long 0xBF8C0F75
.long 0xD3B24028, 0x18031128
	;; [unrolled: 2-line block ×7, first 2 shown]
.long 0xBF820045
.long 0xBF8C0F75
.long 0xD3B24028, 0x18030128
.long 0xBF8C0F74
.long 0xD3B24028, 0x18031128
	;; [unrolled: 2-line block ×6, first 2 shown]
.long 0xBF820032
.long 0xBF8C0F74
.long 0xD3B24028, 0x18030128
.long 0xBF8C0F73
.long 0xD3B24028, 0x18031128
	;; [unrolled: 2-line block ×5, first 2 shown]
.long 0xBF820022
.long 0xBF8C0F73
.long 0xD3B24028, 0x18030128
.long 0xBF8C0F72
.long 0xD3B24028, 0x18031128
	;; [unrolled: 2-line block ×4, first 2 shown]
.long 0xBF820015
.long 0xBF8C0F72
.long 0xD3B24028, 0x18030128
.long 0xBF8C0F71
.long 0xD3B24028, 0x18031128
	;; [unrolled: 2-line block ×3, first 2 shown]
.long 0xBF82000B
.long 0xBF8C0F71
.long 0xD3B24028, 0x18030128
.long 0xBF8C0F70
.long 0xD3B24028, 0x18031128
.long 0xBF820004
.long 0xBF8C0F70
.long 0xD3B24028, 0x18030128
.long 0xBF820000
.long 0x0A202030
	;; [unrolled: 1-line block ×10, first 2 shown]
.long 0xD0CC0038, 0x0001004A
.long 0xD100000E, 0x00E21CF2
.long 0xD100000F, 0x00E21EF2
.long 0xD3B14010, 0x1802210E
.long 0xD3A00010, 0x14421431
.long 0xD3A01011, 0x14461431
.long 0xD3B24010, 0x1802210C
.long 0x262020FF, 0x7FFFFFFF
.long 0x262222FF, 0x7FFFFFFF
.long 0x7E201510
.long 0x7E221511
.long 0xD2A00010, 0x00022310
.long 0xE070D000, 0x80141007
.long 0xBF800000
.long 0xD0CC0038, 0x0001004A
.long 0xD100000E, 0x00E21CF2
.long 0xD100000F, 0x00E21EF2
.long 0xD3B14018, 0x1802310E
.long 0xD3A00018, 0x14622C31
.long 0xD3A01019, 0x14662C31
.long 0xD3B24018, 0x1802310C
.long 0x263030FF, 0x7FFFFFFF
.long 0x263232FF, 0x7FFFFFFF
.long 0x7E301518
.long 0x7E321519
.long 0xD2A00018, 0x00023318
.long 0xE070D000, 0x80141813
.long 0xBF800000
	;; [unrolled: 14-line block ×4, first 2 shown]
.long 0xBF800000
.long 0xBED41C00
.long 0x815684FF, 0x000145F4
.long 0x80545654
.long 0x82558055
	;; [unrolled: 1-line block ×3, first 2 shown]
.long 0x7E5402FF, 0x80000000
.long 0xD0C90054, 0x00003900
	;; [unrolled: 1-line block ×3, first 2 shown]
.long 0x86D85854
.long 0xD1FE0006, 0x02060102
.long 0xD1000006, 0x01620D2A
	;; [unrolled: 1-line block ×5, first 2 shown]
.long 0x24101082
.long 0xD1000008, 0x0162112A
.long 0xBF8CC07F
.long 0xBF8A0000
.long 0xD8EC0000, 0x0C000008
.long 0x24120082
.long 0xE0541000, 0x80120E09
.long 0xD1FE0006, 0x020A0103
	;; [unrolled: 1-line block ×10, first 2 shown]
.long 0x86D85854
.long 0xD1FE0012, 0x02060102
.long 0xD1000012, 0x0162252A
.long 0xE0501000, 0x80041612
.long 0x925402FF, 0x00000080
.long 0xD1350014, 0x0000A900
.long 0x24282882
.long 0xD1000014, 0x0162292A
.long 0x242A0082
.long 0xD1FE0012, 0x020A0103
.long 0xD1000012, 0x0162252A
.long 0xD1FE0013, 0x02060103
.long 0xD1000013, 0x0162272A
.long 0xD1196A01, 0x00010301
.long 0xD1340002, 0x00005502
.long 0xD1340003, 0x00005103
.long 0xD0C90054, 0x00003900
.long 0xD0C90058, 0x00003B01
.long 0x86D85854
.long 0xD1FE001A, 0x02060102
.long 0xD100001A, 0x0162352A
.long 0xE0501000, 0x80041E1A
.long 0x925402FF, 0x00000080
.long 0xD135001C, 0x0000A900
.long 0x24383882
.long 0xD100001C, 0x0162392A
.long 0x243A0082
.long 0xD1FE001A, 0x020A0103
.long 0xD100001A, 0x0162352A
.long 0xD1FE001B, 0x02060103
.long 0xD100001B, 0x0162372A
.long 0xD1196A01, 0x00010301
.long 0xD1340002, 0x00005502
.long 0xD1340003, 0x00005103
.long 0xD0C90054, 0x00003900
.long 0xD0C90058, 0x00003B01
	;; [unrolled: 18-line block ×3, first 2 shown]
.long 0xD3D84021, 0x18000106
.long 0xD3D84028, 0x18000103
	;; [unrolled: 1-line block ×3, first 2 shown]
.long 0xBF800001
.long 0xE074D000, 0x80031006
.long 0xE074D000, 0x80031812
.long 0xE074D000, 0x8003201A
.long 0xE074D000, 0x80032822
.long 0xBF800000
.long 0x92421415
	;; [unrolled: 1-line block ×16, first 2 shown]
.long 0xC2330CCC, 0x00000000
.long 0x965F811C
.long 0x925E811C
	;; [unrolled: 1-line block ×15, first 2 shown]
.long 0x7E5402FF, 0x80000000
.long 0xBEE00016
.long 0xBEE10017
	;; [unrolled: 1-line block ×7, first 2 shown]
.long 0xE054D000, 0x80181006
.long 0xBE850032
.long 0x81858105
	;; [unrolled: 1-line block ×6, first 2 shown]
.long 0xE054D000, 0x80188006
.long 0x81858105
.long 0x80605A60
.long 0x82615B61
.long 0xBF008005
.long 0xBF850276
.long 0xE054D000, 0x80188806
.long 0x81858105
.long 0x80605A60
.long 0x82615B61
.long 0xBF008005
.long 0xBF850268
.long 0xE054D000, 0x80189006
.long 0x81858105
.long 0x80605A60
.long 0x82615B61
.long 0xBF008005
.long 0xBF850257
.long 0xE054D000, 0x80189806
.long 0x81858105
.long 0x80605A60
.long 0x82615B61
.long 0xBF008005
.long 0xBF850243
.long 0xE054D000, 0x8018A006
.long 0x81858105
.long 0x80605A60
.long 0x82615B61
.long 0xBF008005
.long 0xBF85022C
.long 0xE054D000, 0x8018A806
.long 0x81858105
.long 0x80605A60
.long 0x82615B61
.long 0xBF008005
.long 0xBF850212
.long 0xE054D000, 0x8018B006
.long 0x81858105
.long 0x80605A60
.long 0x82615B61
.long 0xBF008005
.long 0xBF8501F5
.long 0xE054D000, 0x8018B806
.long 0x81858105
.long 0x80605A60
.long 0x82615B61
.long 0xBF008005
.long 0xBF8501D5
.long 0xE054D000, 0x8018C006
.long 0x81858105
.long 0x80605A60
.long 0x82615B61
.long 0xBF008005
.long 0xBF8501B2
.long 0xE054D000, 0x8018C806
.long 0x81858105
.long 0x80605A60
.long 0x82615B61
.long 0xBF008005
.long 0xBF85018C
.long 0xE054D000, 0x8018D006
.long 0x81858105
.long 0x80605A60
.long 0x82615B61
.long 0xBF008005
.long 0xBF850163
.long 0xE054D000, 0x8018D806
.long 0x81858105
.long 0x80605A60
.long 0x82615B61
.long 0xBF008005
.long 0xBF850137
.long 0xE054D000, 0x8018E006
.long 0x81858105
.long 0x80605A60
.long 0x82615B61
.long 0xBF008005
.long 0xBF850108
.long 0xE054D000, 0x8018E806
.long 0x81858105
.long 0x80605A60
.long 0x82615B61
.long 0xBF008005
.long 0xBF8500D6
.long 0xE054D000, 0x8018F006
.long 0xBF8C0F7E
.long 0xD3B24010, 0x18030110
.long 0x81858105
.long 0xBF05CE05
.long 0xBF850217
.long 0x80605A60
.long 0x82615B61
.long 0xD0C6005C, 0x00000A80
.long 0xD100002B, 0x01725506
.long 0xE054D000, 0x8018802B
.long 0xBF8C0F7E
.long 0xD3B24010, 0x18031110
.long 0x81858105
.long 0xBF05CE05
.long 0xBF850209
.long 0x80605A60
.long 0x82615B61
.long 0xD0C6005C, 0x00000A80
.long 0xD100002B, 0x01725506
	;; [unrolled: 10-line block ×15, first 2 shown]
.long 0xE054D000, 0x8018F02B
.long 0xBF02CE05
.long 0xBF85FF2C
	;; [unrolled: 1-line block ×3, first 2 shown]
.long 0xD3B24010, 0x18030110
.long 0xBF8C0F7C
.long 0xD3B24010, 0x18031110
.long 0xBF8C0F7B
.long 0xD3B24010, 0x18032110
.long 0xBF8C0F7A
.long 0xD3B24010, 0x18033110
.long 0xBF8C0F79
.long 0xD3B24010, 0x18034110
.long 0xBF8C0F78
.long 0xD3B24010, 0x18035110
.long 0xBF8C0F77
.long 0xD3B24010, 0x18036110
.long 0xBF8C0F76
.long 0xD3B24010, 0x18037110
.long 0xBF8C0F75
.long 0xD3B24010, 0x18038110
.long 0xBF8C0F74
.long 0xD3B24010, 0x18039110
.long 0xBF8C0F73
.long 0xD3B24010, 0x1803A110
.long 0xBF8C0F72
.long 0xD3B24010, 0x1803B110
.long 0xBF8C0F71
.long 0xD3B24010, 0x1803C110
.long 0xBF8C0F70
.long 0xD3B24010, 0x1803D110
.long 0xBF82011E
.long 0xBF8C0F7C
.long 0xD3B24010, 0x18030110
.long 0xBF8C0F7B
.long 0xD3B24010, 0x18031110
	;; [unrolled: 2-line block ×13, first 2 shown]
.long 0xBF8200F6
.long 0xBF8C0F7B
.long 0xD3B24010, 0x18030110
.long 0xBF8C0F7A
.long 0xD3B24010, 0x18031110
.long 0xBF8C0F79
.long 0xD3B24010, 0x18032110
.long 0xBF8C0F78
.long 0xD3B24010, 0x18033110
.long 0xBF8C0F77
.long 0xD3B24010, 0x18034110
.long 0xBF8C0F76
.long 0xD3B24010, 0x18035110
.long 0xBF8C0F75
.long 0xD3B24010, 0x18036110
.long 0xBF8C0F74
.long 0xD3B24010, 0x18037110
.long 0xBF8C0F73
.long 0xD3B24010, 0x18038110
.long 0xBF8C0F72
.long 0xD3B24010, 0x18039110
.long 0xBF8C0F71
.long 0xD3B24010, 0x1803A110
.long 0xBF8C0F70
.long 0xD3B24010, 0x1803B110
.long 0xBF8200D1
.long 0xBF8C0F7A
.long 0xD3B24010, 0x18030110
.long 0xBF8C0F79
.long 0xD3B24010, 0x18031110
.long 0xBF8C0F78
.long 0xD3B24010, 0x18032110
.long 0xBF8C0F77
.long 0xD3B24010, 0x18033110
.long 0xBF8C0F76
.long 0xD3B24010, 0x18034110
.long 0xBF8C0F75
.long 0xD3B24010, 0x18035110
.long 0xBF8C0F74
.long 0xD3B24010, 0x18036110
.long 0xBF8C0F73
.long 0xD3B24010, 0x18037110
.long 0xBF8C0F72
.long 0xD3B24010, 0x18038110
.long 0xBF8C0F71
.long 0xD3B24010, 0x18039110
.long 0xBF8C0F70
.long 0xD3B24010, 0x1803A110
.long 0xBF8200AF
.long 0xBF8C0F79
.long 0xD3B24010, 0x18030110
.long 0xBF8C0F78
.long 0xD3B24010, 0x18031110
	;; [unrolled: 2-line block ×10, first 2 shown]
.long 0xBF820090
.long 0xBF8C0F78
.long 0xD3B24010, 0x18030110
.long 0xBF8C0F77
.long 0xD3B24010, 0x18031110
	;; [unrolled: 2-line block ×9, first 2 shown]
.long 0xBF820074
.long 0xBF8C0F77
.long 0xD3B24010, 0x18030110
.long 0xBF8C0F76
.long 0xD3B24010, 0x18031110
.long 0xBF8C0F75
.long 0xD3B24010, 0x18032110
.long 0xBF8C0F74
.long 0xD3B24010, 0x18033110
.long 0xBF8C0F73
.long 0xD3B24010, 0x18034110
.long 0xBF8C0F72
.long 0xD3B24010, 0x18035110
.long 0xBF8C0F71
.long 0xD3B24010, 0x18036110
.long 0xBF8C0F70
.long 0xD3B24010, 0x18037110
.long 0xBF82005B
.long 0xBF8C0F76
.long 0xD3B24010, 0x18030110
.long 0xBF8C0F75
.long 0xD3B24010, 0x18031110
	;; [unrolled: 2-line block ×7, first 2 shown]
.long 0xBF820045
.long 0xBF8C0F75
.long 0xD3B24010, 0x18030110
.long 0xBF8C0F74
.long 0xD3B24010, 0x18031110
.long 0xBF8C0F73
.long 0xD3B24010, 0x18032110
.long 0xBF8C0F72
.long 0xD3B24010, 0x18033110
.long 0xBF8C0F71
.long 0xD3B24010, 0x18034110
.long 0xBF8C0F70
.long 0xD3B24010, 0x18035110
.long 0xBF820032
.long 0xBF8C0F74
.long 0xD3B24010, 0x18030110
.long 0xBF8C0F73
.long 0xD3B24010, 0x18031110
	;; [unrolled: 2-line block ×5, first 2 shown]
.long 0xBF820022
.long 0xBF8C0F73
.long 0xD3B24010, 0x18030110
.long 0xBF8C0F72
.long 0xD3B24010, 0x18031110
	;; [unrolled: 2-line block ×4, first 2 shown]
.long 0xBF820015
.long 0xBF8C0F72
.long 0xD3B24010, 0x18030110
.long 0xBF8C0F71
.long 0xD3B24010, 0x18031110
	;; [unrolled: 2-line block ×3, first 2 shown]
.long 0xBF82000B
.long 0xBF8C0F71
.long 0xD3B24010, 0x18030110
.long 0xBF8C0F70
.long 0xD3B24010, 0x18031110
.long 0xBF820004
.long 0xBF8C0F70
.long 0xD3B24010, 0x18030110
.long 0xBF820000
.long 0x7E5402FF, 0x80000000
.long 0xBEE00016
.long 0xBEE10017
	;; [unrolled: 1-line block ×4, first 2 shown]
.long 0xE054D000, 0x80181812
.long 0xBE850032
.long 0x81858105
	;; [unrolled: 1-line block ×6, first 2 shown]
.long 0xE054D000, 0x80188012
.long 0x81858105
.long 0x80605A60
.long 0x82615B61
.long 0xBF008005
.long 0xBF850276
.long 0xE054D000, 0x80188812
.long 0x81858105
.long 0x80605A60
.long 0x82615B61
.long 0xBF008005
.long 0xBF850268
.long 0xE054D000, 0x80189012
.long 0x81858105
.long 0x80605A60
.long 0x82615B61
.long 0xBF008005
.long 0xBF850257
.long 0xE054D000, 0x80189812
.long 0x81858105
.long 0x80605A60
.long 0x82615B61
.long 0xBF008005
.long 0xBF850243
.long 0xE054D000, 0x8018A012
.long 0x81858105
.long 0x80605A60
.long 0x82615B61
.long 0xBF008005
.long 0xBF85022C
.long 0xE054D000, 0x8018A812
.long 0x81858105
.long 0x80605A60
.long 0x82615B61
.long 0xBF008005
.long 0xBF850212
.long 0xE054D000, 0x8018B012
.long 0x81858105
.long 0x80605A60
.long 0x82615B61
.long 0xBF008005
.long 0xBF8501F5
.long 0xE054D000, 0x8018B812
.long 0x81858105
.long 0x80605A60
.long 0x82615B61
.long 0xBF008005
.long 0xBF8501D5
.long 0xE054D000, 0x8018C012
.long 0x81858105
.long 0x80605A60
.long 0x82615B61
.long 0xBF008005
.long 0xBF8501B2
.long 0xE054D000, 0x8018C812
.long 0x81858105
.long 0x80605A60
.long 0x82615B61
.long 0xBF008005
.long 0xBF85018C
.long 0xE054D000, 0x8018D012
.long 0x81858105
.long 0x80605A60
.long 0x82615B61
.long 0xBF008005
.long 0xBF850163
.long 0xE054D000, 0x8018D812
.long 0x81858105
.long 0x80605A60
.long 0x82615B61
.long 0xBF008005
.long 0xBF850137
.long 0xE054D000, 0x8018E012
.long 0x81858105
.long 0x80605A60
.long 0x82615B61
.long 0xBF008005
.long 0xBF850108
.long 0xE054D000, 0x8018E812
.long 0x81858105
.long 0x80605A60
.long 0x82615B61
.long 0xBF008005
.long 0xBF8500D6
.long 0xE054D000, 0x8018F012
.long 0xBF8C0F7E
.long 0xD3B24018, 0x18030118
.long 0x81858105
.long 0xBF05CE05
.long 0xBF850217
.long 0x80605A60
.long 0x82615B61
.long 0xD0C6005C, 0x00000A80
.long 0xD100002B, 0x01725512
.long 0xE054D000, 0x8018802B
.long 0xBF8C0F7E
.long 0xD3B24018, 0x18031118
.long 0x81858105
.long 0xBF05CE05
.long 0xBF850209
.long 0x80605A60
.long 0x82615B61
.long 0xD0C6005C, 0x00000A80
.long 0xD100002B, 0x01725512
	;; [unrolled: 10-line block ×15, first 2 shown]
.long 0xE054D000, 0x8018F02B
.long 0xBF02CE05
.long 0xBF85FF2C
	;; [unrolled: 1-line block ×3, first 2 shown]
.long 0xD3B24018, 0x18030118
.long 0xBF8C0F7C
.long 0xD3B24018, 0x18031118
.long 0xBF8C0F7B
	;; [unrolled: 2-line block ×14, first 2 shown]
.long 0xBF8C0F7C
.long 0xD3B24018, 0x18030118
.long 0xBF8C0F7B
.long 0xD3B24018, 0x18031118
.long 0xBF8C0F7A
.long 0xD3B24018, 0x18032118
.long 0xBF8C0F79
.long 0xD3B24018, 0x18033118
.long 0xBF8C0F78
.long 0xD3B24018, 0x18034118
.long 0xBF8C0F77
.long 0xD3B24018, 0x18035118
.long 0xBF8C0F76
.long 0xD3B24018, 0x18036118
.long 0xBF8C0F75
.long 0xD3B24018, 0x18037118
.long 0xBF8C0F74
.long 0xD3B24018, 0x18038118
.long 0xBF8C0F73
.long 0xD3B24018, 0x18039118
.long 0xBF8C0F72
.long 0xD3B24018, 0x1803A118
.long 0xBF8C0F71
.long 0xD3B24018, 0x1803B118
.long 0xBF8C0F70
.long 0xD3B24018, 0x1803C118
.long 0xBF8200F6
.long 0xBF8C0F7B
.long 0xD3B24018, 0x18030118
.long 0xBF8C0F7A
.long 0xD3B24018, 0x18031118
.long 0xBF8C0F79
.long 0xD3B24018, 0x18032118
.long 0xBF8C0F78
.long 0xD3B24018, 0x18033118
.long 0xBF8C0F77
.long 0xD3B24018, 0x18034118
.long 0xBF8C0F76
.long 0xD3B24018, 0x18035118
.long 0xBF8C0F75
.long 0xD3B24018, 0x18036118
.long 0xBF8C0F74
.long 0xD3B24018, 0x18037118
.long 0xBF8C0F73
.long 0xD3B24018, 0x18038118
.long 0xBF8C0F72
.long 0xD3B24018, 0x18039118
.long 0xBF8C0F71
.long 0xD3B24018, 0x1803A118
.long 0xBF8C0F70
.long 0xD3B24018, 0x1803B118
.long 0xBF8200D1
.long 0xBF8C0F7A
.long 0xD3B24018, 0x18030118
.long 0xBF8C0F79
.long 0xD3B24018, 0x18031118
	;; [unrolled: 2-line block ×11, first 2 shown]
.long 0xBF8200AF
.long 0xBF8C0F79
.long 0xD3B24018, 0x18030118
.long 0xBF8C0F78
.long 0xD3B24018, 0x18031118
	;; [unrolled: 2-line block ×10, first 2 shown]
.long 0xBF820090
.long 0xBF8C0F78
.long 0xD3B24018, 0x18030118
.long 0xBF8C0F77
.long 0xD3B24018, 0x18031118
	;; [unrolled: 2-line block ×9, first 2 shown]
.long 0xBF820074
.long 0xBF8C0F77
.long 0xD3B24018, 0x18030118
.long 0xBF8C0F76
.long 0xD3B24018, 0x18031118
	;; [unrolled: 2-line block ×8, first 2 shown]
.long 0xBF82005B
.long 0xBF8C0F76
.long 0xD3B24018, 0x18030118
.long 0xBF8C0F75
.long 0xD3B24018, 0x18031118
	;; [unrolled: 2-line block ×7, first 2 shown]
.long 0xBF820045
.long 0xBF8C0F75
.long 0xD3B24018, 0x18030118
.long 0xBF8C0F74
.long 0xD3B24018, 0x18031118
	;; [unrolled: 2-line block ×6, first 2 shown]
.long 0xBF820032
.long 0xBF8C0F74
.long 0xD3B24018, 0x18030118
.long 0xBF8C0F73
.long 0xD3B24018, 0x18031118
.long 0xBF8C0F72
.long 0xD3B24018, 0x18032118
.long 0xBF8C0F71
.long 0xD3B24018, 0x18033118
.long 0xBF8C0F70
.long 0xD3B24018, 0x18034118
.long 0xBF820022
.long 0xBF8C0F73
.long 0xD3B24018, 0x18030118
.long 0xBF8C0F72
.long 0xD3B24018, 0x18031118
	;; [unrolled: 2-line block ×4, first 2 shown]
.long 0xBF820015
.long 0xBF8C0F72
.long 0xD3B24018, 0x18030118
.long 0xBF8C0F71
.long 0xD3B24018, 0x18031118
	;; [unrolled: 2-line block ×3, first 2 shown]
.long 0xBF82000B
.long 0xBF8C0F71
.long 0xD3B24018, 0x18030118
.long 0xBF8C0F70
.long 0xD3B24018, 0x18031118
.long 0xBF820004
.long 0xBF8C0F70
.long 0xD3B24018, 0x18030118
.long 0xBF820000
.long 0x7E5402FF, 0x80000000
.long 0xBEE00016
.long 0xBEE10017
	;; [unrolled: 1-line block ×4, first 2 shown]
.long 0xE054D000, 0x8018201A
.long 0xBE850032
.long 0x81858105
	;; [unrolled: 1-line block ×6, first 2 shown]
.long 0xE054D000, 0x8018801A
.long 0x81858105
.long 0x80605A60
.long 0x82615B61
.long 0xBF008005
.long 0xBF850276
.long 0xE054D000, 0x8018881A
.long 0x81858105
.long 0x80605A60
.long 0x82615B61
.long 0xBF008005
.long 0xBF850268
	;; [unrolled: 6-line block ×14, first 2 shown]
.long 0xE054D000, 0x8018F01A
.long 0xBF8C0F7E
.long 0xD3B24020, 0x18030120
.long 0x81858105
.long 0xBF05CE05
.long 0xBF850217
.long 0x80605A60
.long 0x82615B61
.long 0xD0C6005C, 0x00000A80
.long 0xD100002B, 0x0172551A
.long 0xE054D000, 0x8018802B
.long 0xBF8C0F7E
.long 0xD3B24020, 0x18031120
.long 0x81858105
.long 0xBF05CE05
.long 0xBF850209
.long 0x80605A60
.long 0x82615B61
.long 0xD0C6005C, 0x00000A80
.long 0xD100002B, 0x0172551A
	;; [unrolled: 10-line block ×15, first 2 shown]
.long 0xE054D000, 0x8018F02B
.long 0xBF02CE05
.long 0xBF85FF2C
	;; [unrolled: 1-line block ×3, first 2 shown]
.long 0xD3B24020, 0x18030120
.long 0xBF8C0F7C
.long 0xD3B24020, 0x18031120
.long 0xBF8C0F7B
	;; [unrolled: 2-line block ×14, first 2 shown]
.long 0xBF8C0F7C
.long 0xD3B24020, 0x18030120
.long 0xBF8C0F7B
.long 0xD3B24020, 0x18031120
	;; [unrolled: 2-line block ×13, first 2 shown]
.long 0xBF8200F6
.long 0xBF8C0F7B
.long 0xD3B24020, 0x18030120
.long 0xBF8C0F7A
.long 0xD3B24020, 0x18031120
	;; [unrolled: 2-line block ×12, first 2 shown]
.long 0xBF8200D1
.long 0xBF8C0F7A
.long 0xD3B24020, 0x18030120
.long 0xBF8C0F79
.long 0xD3B24020, 0x18031120
	;; [unrolled: 2-line block ×11, first 2 shown]
.long 0xBF8200AF
.long 0xBF8C0F79
.long 0xD3B24020, 0x18030120
.long 0xBF8C0F78
.long 0xD3B24020, 0x18031120
	;; [unrolled: 2-line block ×10, first 2 shown]
.long 0xBF820090
.long 0xBF8C0F78
.long 0xD3B24020, 0x18030120
.long 0xBF8C0F77
.long 0xD3B24020, 0x18031120
	;; [unrolled: 2-line block ×9, first 2 shown]
.long 0xBF820074
.long 0xBF8C0F77
.long 0xD3B24020, 0x18030120
.long 0xBF8C0F76
.long 0xD3B24020, 0x18031120
	;; [unrolled: 2-line block ×8, first 2 shown]
.long 0xBF82005B
.long 0xBF8C0F76
.long 0xD3B24020, 0x18030120
.long 0xBF8C0F75
.long 0xD3B24020, 0x18031120
	;; [unrolled: 2-line block ×7, first 2 shown]
.long 0xBF820045
.long 0xBF8C0F75
.long 0xD3B24020, 0x18030120
.long 0xBF8C0F74
.long 0xD3B24020, 0x18031120
	;; [unrolled: 2-line block ×6, first 2 shown]
.long 0xBF820032
.long 0xBF8C0F74
.long 0xD3B24020, 0x18030120
.long 0xBF8C0F73
.long 0xD3B24020, 0x18031120
.long 0xBF8C0F72
.long 0xD3B24020, 0x18032120
.long 0xBF8C0F71
.long 0xD3B24020, 0x18033120
.long 0xBF8C0F70
.long 0xD3B24020, 0x18034120
.long 0xBF820022
.long 0xBF8C0F73
.long 0xD3B24020, 0x18030120
.long 0xBF8C0F72
.long 0xD3B24020, 0x18031120
.long 0xBF8C0F71
.long 0xD3B24020, 0x18032120
.long 0xBF8C0F70
.long 0xD3B24020, 0x18033120
.long 0xBF820015
.long 0xBF8C0F72
.long 0xD3B24020, 0x18030120
.long 0xBF8C0F71
.long 0xD3B24020, 0x18031120
.long 0xBF8C0F70
.long 0xD3B24020, 0x18032120
.long 0xBF82000B
.long 0xBF8C0F71
.long 0xD3B24020, 0x18030120
.long 0xBF8C0F70
.long 0xD3B24020, 0x18031120
.long 0xBF820004
.long 0xBF8C0F70
.long 0xD3B24020, 0x18030120
.long 0xBF820000
.long 0x7E5402FF, 0x80000000
.long 0xBEE00016
.long 0xBEE10017
	;; [unrolled: 1-line block ×4, first 2 shown]
.long 0xE054D000, 0x80182822
.long 0xBE850032
.long 0x81858105
	;; [unrolled: 1-line block ×6, first 2 shown]
.long 0xE054D000, 0x80188022
.long 0x81858105
.long 0x80605A60
.long 0x82615B61
.long 0xBF008005
.long 0xBF850276
.long 0xE054D000, 0x80188822
.long 0x81858105
.long 0x80605A60
.long 0x82615B61
.long 0xBF008005
.long 0xBF850268
	;; [unrolled: 6-line block ×14, first 2 shown]
.long 0xE054D000, 0x8018F022
.long 0xBF8C0F7E
.long 0xD3B24028, 0x18030128
.long 0x81858105
.long 0xBF05CE05
.long 0xBF850217
.long 0x80605A60
.long 0x82615B61
.long 0xD0C6005C, 0x00000A80
.long 0xD100002B, 0x01725522
.long 0xE054D000, 0x8018802B
.long 0xBF8C0F7E
.long 0xD3B24028, 0x18031128
.long 0x81858105
.long 0xBF05CE05
.long 0xBF850209
.long 0x80605A60
.long 0x82615B61
.long 0xD0C6005C, 0x00000A80
.long 0xD100002B, 0x01725522
	;; [unrolled: 10-line block ×15, first 2 shown]
.long 0xE054D000, 0x8018F02B
.long 0xBF02CE05
.long 0xBF85FF2C
	;; [unrolled: 1-line block ×3, first 2 shown]
.long 0xD3B24028, 0x18030128
.long 0xBF8C0F7C
.long 0xD3B24028, 0x18031128
.long 0xBF8C0F7B
	;; [unrolled: 2-line block ×14, first 2 shown]
.long 0xBF8C0F7C
.long 0xD3B24028, 0x18030128
.long 0xBF8C0F7B
.long 0xD3B24028, 0x18031128
	;; [unrolled: 2-line block ×13, first 2 shown]
.long 0xBF8200F6
.long 0xBF8C0F7B
.long 0xD3B24028, 0x18030128
.long 0xBF8C0F7A
.long 0xD3B24028, 0x18031128
	;; [unrolled: 2-line block ×12, first 2 shown]
.long 0xBF8200D1
.long 0xBF8C0F7A
.long 0xD3B24028, 0x18030128
.long 0xBF8C0F79
.long 0xD3B24028, 0x18031128
.long 0xBF8C0F78
.long 0xD3B24028, 0x18032128
.long 0xBF8C0F77
.long 0xD3B24028, 0x18033128
.long 0xBF8C0F76
.long 0xD3B24028, 0x18034128
.long 0xBF8C0F75
.long 0xD3B24028, 0x18035128
.long 0xBF8C0F74
.long 0xD3B24028, 0x18036128
.long 0xBF8C0F73
.long 0xD3B24028, 0x18037128
.long 0xBF8C0F72
.long 0xD3B24028, 0x18038128
.long 0xBF8C0F71
.long 0xD3B24028, 0x18039128
.long 0xBF8C0F70
.long 0xD3B24028, 0x1803A128
.long 0xBF8200AF
.long 0xBF8C0F79
.long 0xD3B24028, 0x18030128
.long 0xBF8C0F78
.long 0xD3B24028, 0x18031128
	;; [unrolled: 2-line block ×10, first 2 shown]
.long 0xBF820090
.long 0xBF8C0F78
.long 0xD3B24028, 0x18030128
.long 0xBF8C0F77
.long 0xD3B24028, 0x18031128
	;; [unrolled: 2-line block ×9, first 2 shown]
.long 0xBF820074
.long 0xBF8C0F77
.long 0xD3B24028, 0x18030128
.long 0xBF8C0F76
.long 0xD3B24028, 0x18031128
	;; [unrolled: 2-line block ×8, first 2 shown]
.long 0xBF82005B
.long 0xBF8C0F76
.long 0xD3B24028, 0x18030128
.long 0xBF8C0F75
.long 0xD3B24028, 0x18031128
	;; [unrolled: 2-line block ×7, first 2 shown]
.long 0xBF820045
.long 0xBF8C0F75
.long 0xD3B24028, 0x18030128
.long 0xBF8C0F74
.long 0xD3B24028, 0x18031128
	;; [unrolled: 2-line block ×6, first 2 shown]
.long 0xBF820032
.long 0xBF8C0F74
.long 0xD3B24028, 0x18030128
.long 0xBF8C0F73
.long 0xD3B24028, 0x18031128
	;; [unrolled: 2-line block ×5, first 2 shown]
.long 0xBF820022
.long 0xBF8C0F73
.long 0xD3B24028, 0x18030128
.long 0xBF8C0F72
.long 0xD3B24028, 0x18031128
	;; [unrolled: 2-line block ×4, first 2 shown]
.long 0xBF820015
.long 0xBF8C0F72
.long 0xD3B24028, 0x18030128
.long 0xBF8C0F71
.long 0xD3B24028, 0x18031128
	;; [unrolled: 2-line block ×3, first 2 shown]
.long 0xBF82000B
.long 0xBF8C0F71
.long 0xD3B24028, 0x18030128
.long 0xBF8C0F70
.long 0xD3B24028, 0x18031128
.long 0xBF820004
.long 0xBF8C0F70
.long 0xD3B24028, 0x18030128
.long 0xBF820000
.long 0x0A202030
	;; [unrolled: 1-line block ×10, first 2 shown]
.long 0xD0CC0038, 0x0001004A
.long 0xD100000E, 0x00E21CF2
.long 0xD100000F, 0x00E21EF2
.long 0xD3B14010, 0x1802210E
.long 0xD3A00010, 0x14421431
.long 0xD3A01011, 0x14461431
.long 0xD3B24010, 0x1802210C
.long 0xD044006A, 0x00007D10
.long 0x1420203F
.long 0x00202080
.long 0xD044006A, 0x00007D11
.long 0x1422223F
.long 0x00222280
.long 0x7E201510
.long 0x7E221511
.long 0xD2A00010, 0x00022310
.long 0xE070D000, 0x80141007
.long 0xBF800000
.long 0xD0CC0038, 0x0001004A
.long 0xD100000E, 0x00E21CF2
.long 0xD100000F, 0x00E21EF2
.long 0xD3B14018, 0x1802310E
.long 0xD3A00018, 0x14622C31
.long 0xD3A01019, 0x14662C31
.long 0xD3B24018, 0x1802310C
.long 0xD044006A, 0x00007D18
.long 0x1430303F
.long 0x00303080
.long 0xD044006A, 0x00007D19
.long 0x1432323F
.long 0x00323280
.long 0x7E301518
.long 0x7E321519
.long 0xD2A00018, 0x00023318
.long 0xE070D000, 0x80141813
.long 0xBF800000
	;; [unrolled: 18-line block ×4, first 2 shown]
.long 0xBF800000
.long 0xBF8245FB
.long 0x7E5402FF, 0x80000000
.long 0xD0C90054, 0x00003900
	;; [unrolled: 1-line block ×3, first 2 shown]
.long 0x86D85854
.long 0xD1FE0006, 0x02060102
.long 0xD1000006, 0x01620D2A
	;; [unrolled: 1-line block ×5, first 2 shown]
.long 0x24101082
.long 0xD1000008, 0x0162112A
.long 0xBF8CC07F
.long 0xBF8A0000
.long 0xD8EC0000, 0x0C000008
.long 0x24120082
.long 0xE0541000, 0x80120E09
.long 0xD1FE0006, 0x020A0103
	;; [unrolled: 1-line block ×10, first 2 shown]
.long 0x86D85854
.long 0xD1FE0012, 0x02060102
.long 0xD1000012, 0x0162252A
.long 0xE0501000, 0x80041612
.long 0x925402FF, 0x00000080
.long 0xD1350014, 0x0000A900
.long 0x24282882
.long 0xD1000014, 0x0162292A
.long 0x242A0082
.long 0xD1FE0012, 0x020A0103
.long 0xD1000012, 0x0162252A
.long 0xD1FE0013, 0x02060103
.long 0xD1000013, 0x0162272A
.long 0xD1196A01, 0x00010301
.long 0xD1340002, 0x00005502
.long 0xD1340003, 0x00005103
.long 0xD0C90054, 0x00003900
.long 0xD0C90058, 0x00003B01
.long 0x86D85854
.long 0xD1FE001A, 0x02060102
.long 0xD100001A, 0x0162352A
.long 0xE0501000, 0x80041E1A
.long 0x925402FF, 0x00000080
.long 0xD135001C, 0x0000A900
.long 0x24383882
.long 0xD100001C, 0x0162392A
.long 0x243A0082
.long 0xD1FE001A, 0x020A0103
.long 0xD100001A, 0x0162352A
.long 0xD1FE001B, 0x02060103
.long 0xD100001B, 0x0162372A
.long 0xD1196A01, 0x00010301
.long 0xD1340002, 0x00005502
.long 0xD1340003, 0x00005103
.long 0xD0C90054, 0x00003900
.long 0xD0C90058, 0x00003B01
	;; [unrolled: 18-line block ×3, first 2 shown]
.long 0xD3D84021, 0x18000106
.long 0xD3D84028, 0x18000103
	;; [unrolled: 1-line block ×3, first 2 shown]
.long 0xBF800001
.long 0xE074D000, 0x80031006
.long 0xE074D000, 0x80031812
	;; [unrolled: 1-line block ×4, first 2 shown]
.long 0xBF800000
.long 0x92421415
	;; [unrolled: 1-line block ×16, first 2 shown]
.long 0xC2330CCC, 0x00000000
.long 0x965F811C
.long 0x925E811C
	;; [unrolled: 1-line block ×15, first 2 shown]
.long 0x7E5402FF, 0x80000000
.long 0xBEE00016
.long 0xBEE10017
	;; [unrolled: 1-line block ×7, first 2 shown]
.long 0xE054D000, 0x80181006
.long 0xBE850032
.long 0x81858105
	;; [unrolled: 1-line block ×6, first 2 shown]
.long 0xE054D000, 0x80188006
.long 0x81858105
.long 0x80605A60
.long 0x82615B61
.long 0xBF008005
.long 0xBF850276
.long 0xE054D000, 0x80188806
.long 0x81858105
.long 0x80605A60
.long 0x82615B61
.long 0xBF008005
.long 0xBF850268
	;; [unrolled: 6-line block ×14, first 2 shown]
.long 0xE054D000, 0x8018F006
.long 0xBF8C0F7E
.long 0xD3B24010, 0x18030110
.long 0x81858105
.long 0xBF05CE05
.long 0xBF850217
.long 0x80605A60
.long 0x82615B61
.long 0xD0C6005C, 0x00000A80
.long 0xD100002B, 0x01725506
.long 0xE054D000, 0x8018802B
.long 0xBF8C0F7E
.long 0xD3B24010, 0x18031110
.long 0x81858105
.long 0xBF05CE05
.long 0xBF850209
.long 0x80605A60
.long 0x82615B61
.long 0xD0C6005C, 0x00000A80
.long 0xD100002B, 0x01725506
	;; [unrolled: 10-line block ×15, first 2 shown]
.long 0xE054D000, 0x8018F02B
.long 0xBF02CE05
.long 0xBF85FF2C
	;; [unrolled: 1-line block ×3, first 2 shown]
.long 0xD3B24010, 0x18030110
.long 0xBF8C0F7C
.long 0xD3B24010, 0x18031110
.long 0xBF8C0F7B
	;; [unrolled: 2-line block ×14, first 2 shown]
.long 0xBF8C0F7C
.long 0xD3B24010, 0x18030110
.long 0xBF8C0F7B
.long 0xD3B24010, 0x18031110
	;; [unrolled: 2-line block ×13, first 2 shown]
.long 0xBF8200F6
.long 0xBF8C0F7B
.long 0xD3B24010, 0x18030110
.long 0xBF8C0F7A
.long 0xD3B24010, 0x18031110
	;; [unrolled: 2-line block ×12, first 2 shown]
.long 0xBF8200D1
.long 0xBF8C0F7A
.long 0xD3B24010, 0x18030110
.long 0xBF8C0F79
.long 0xD3B24010, 0x18031110
	;; [unrolled: 2-line block ×11, first 2 shown]
.long 0xBF8200AF
.long 0xBF8C0F79
.long 0xD3B24010, 0x18030110
.long 0xBF8C0F78
.long 0xD3B24010, 0x18031110
	;; [unrolled: 2-line block ×10, first 2 shown]
.long 0xBF820090
.long 0xBF8C0F78
.long 0xD3B24010, 0x18030110
.long 0xBF8C0F77
.long 0xD3B24010, 0x18031110
	;; [unrolled: 2-line block ×9, first 2 shown]
.long 0xBF820074
.long 0xBF8C0F77
.long 0xD3B24010, 0x18030110
.long 0xBF8C0F76
.long 0xD3B24010, 0x18031110
	;; [unrolled: 2-line block ×8, first 2 shown]
.long 0xBF82005B
.long 0xBF8C0F76
.long 0xD3B24010, 0x18030110
.long 0xBF8C0F75
.long 0xD3B24010, 0x18031110
	;; [unrolled: 2-line block ×7, first 2 shown]
.long 0xBF820045
.long 0xBF8C0F75
.long 0xD3B24010, 0x18030110
.long 0xBF8C0F74
.long 0xD3B24010, 0x18031110
	;; [unrolled: 2-line block ×6, first 2 shown]
.long 0xBF820032
.long 0xBF8C0F74
.long 0xD3B24010, 0x18030110
.long 0xBF8C0F73
.long 0xD3B24010, 0x18031110
	;; [unrolled: 2-line block ×5, first 2 shown]
.long 0xBF820022
.long 0xBF8C0F73
.long 0xD3B24010, 0x18030110
.long 0xBF8C0F72
.long 0xD3B24010, 0x18031110
	;; [unrolled: 2-line block ×4, first 2 shown]
.long 0xBF820015
.long 0xBF8C0F72
.long 0xD3B24010, 0x18030110
.long 0xBF8C0F71
.long 0xD3B24010, 0x18031110
	;; [unrolled: 2-line block ×3, first 2 shown]
.long 0xBF82000B
.long 0xBF8C0F71
.long 0xD3B24010, 0x18030110
.long 0xBF8C0F70
.long 0xD3B24010, 0x18031110
.long 0xBF820004
.long 0xBF8C0F70
.long 0xD3B24010, 0x18030110
.long 0xBF820000
.long 0x7E5402FF, 0x80000000
.long 0xBEE00016
.long 0xBEE10017
	;; [unrolled: 1-line block ×4, first 2 shown]
.long 0xE054D000, 0x80181812
.long 0xBE850032
.long 0x81858105
.long 0x80605A60
.long 0x82615B61
.long 0xBF008005
.long 0xBF850281
.long 0xE054D000, 0x80188012
.long 0x81858105
.long 0x80605A60
.long 0x82615B61
.long 0xBF008005
.long 0xBF850276
.long 0xE054D000, 0x80188812
.long 0x81858105
.long 0x80605A60
.long 0x82615B61
.long 0xBF008005
.long 0xBF850268
	;; [unrolled: 6-line block ×14, first 2 shown]
.long 0xE054D000, 0x8018F012
.long 0xBF8C0F7E
.long 0xD3B24018, 0x18030118
.long 0x81858105
.long 0xBF05CE05
.long 0xBF850217
.long 0x80605A60
.long 0x82615B61
.long 0xD0C6005C, 0x00000A80
.long 0xD100002B, 0x01725512
.long 0xE054D000, 0x8018802B
.long 0xBF8C0F7E
.long 0xD3B24018, 0x18031118
.long 0x81858105
.long 0xBF05CE05
.long 0xBF850209
.long 0x80605A60
.long 0x82615B61
.long 0xD0C6005C, 0x00000A80
.long 0xD100002B, 0x01725512
	;; [unrolled: 10-line block ×15, first 2 shown]
.long 0xE054D000, 0x8018F02B
.long 0xBF02CE05
.long 0xBF85FF2C
	;; [unrolled: 1-line block ×3, first 2 shown]
.long 0xD3B24018, 0x18030118
.long 0xBF8C0F7C
.long 0xD3B24018, 0x18031118
.long 0xBF8C0F7B
	;; [unrolled: 2-line block ×14, first 2 shown]
.long 0xBF8C0F7C
.long 0xD3B24018, 0x18030118
.long 0xBF8C0F7B
.long 0xD3B24018, 0x18031118
	;; [unrolled: 2-line block ×13, first 2 shown]
.long 0xBF8200F6
.long 0xBF8C0F7B
.long 0xD3B24018, 0x18030118
.long 0xBF8C0F7A
.long 0xD3B24018, 0x18031118
	;; [unrolled: 2-line block ×12, first 2 shown]
.long 0xBF8200D1
.long 0xBF8C0F7A
.long 0xD3B24018, 0x18030118
.long 0xBF8C0F79
.long 0xD3B24018, 0x18031118
	;; [unrolled: 2-line block ×11, first 2 shown]
.long 0xBF8200AF
.long 0xBF8C0F79
.long 0xD3B24018, 0x18030118
.long 0xBF8C0F78
.long 0xD3B24018, 0x18031118
	;; [unrolled: 2-line block ×10, first 2 shown]
.long 0xBF820090
.long 0xBF8C0F78
.long 0xD3B24018, 0x18030118
.long 0xBF8C0F77
.long 0xD3B24018, 0x18031118
	;; [unrolled: 2-line block ×9, first 2 shown]
.long 0xBF820074
.long 0xBF8C0F77
.long 0xD3B24018, 0x18030118
.long 0xBF8C0F76
.long 0xD3B24018, 0x18031118
	;; [unrolled: 2-line block ×8, first 2 shown]
.long 0xBF82005B
.long 0xBF8C0F76
.long 0xD3B24018, 0x18030118
.long 0xBF8C0F75
.long 0xD3B24018, 0x18031118
	;; [unrolled: 2-line block ×7, first 2 shown]
.long 0xBF820045
.long 0xBF8C0F75
.long 0xD3B24018, 0x18030118
.long 0xBF8C0F74
.long 0xD3B24018, 0x18031118
	;; [unrolled: 2-line block ×6, first 2 shown]
.long 0xBF820032
.long 0xBF8C0F74
.long 0xD3B24018, 0x18030118
.long 0xBF8C0F73
.long 0xD3B24018, 0x18031118
	;; [unrolled: 2-line block ×5, first 2 shown]
.long 0xBF820022
.long 0xBF8C0F73
.long 0xD3B24018, 0x18030118
.long 0xBF8C0F72
.long 0xD3B24018, 0x18031118
	;; [unrolled: 2-line block ×4, first 2 shown]
.long 0xBF820015
.long 0xBF8C0F72
.long 0xD3B24018, 0x18030118
.long 0xBF8C0F71
.long 0xD3B24018, 0x18031118
.long 0xBF8C0F70
.long 0xD3B24018, 0x18032118
.long 0xBF82000B
.long 0xBF8C0F71
.long 0xD3B24018, 0x18030118
.long 0xBF8C0F70
.long 0xD3B24018, 0x18031118
.long 0xBF820004
.long 0xBF8C0F70
.long 0xD3B24018, 0x18030118
.long 0xBF820000
.long 0x7E5402FF, 0x80000000
.long 0xBEE00016
.long 0xBEE10017
	;; [unrolled: 1-line block ×4, first 2 shown]
.long 0xE054D000, 0x8018201A
.long 0xBE850032
.long 0x81858105
	;; [unrolled: 1-line block ×6, first 2 shown]
.long 0xE054D000, 0x8018801A
.long 0x81858105
.long 0x80605A60
.long 0x82615B61
.long 0xBF008005
.long 0xBF850276
.long 0xE054D000, 0x8018881A
.long 0x81858105
.long 0x80605A60
.long 0x82615B61
.long 0xBF008005
.long 0xBF850268
	;; [unrolled: 6-line block ×14, first 2 shown]
.long 0xE054D000, 0x8018F01A
.long 0xBF8C0F7E
.long 0xD3B24020, 0x18030120
.long 0x81858105
.long 0xBF05CE05
.long 0xBF850217
.long 0x80605A60
.long 0x82615B61
.long 0xD0C6005C, 0x00000A80
.long 0xD100002B, 0x0172551A
.long 0xE054D000, 0x8018802B
.long 0xBF8C0F7E
.long 0xD3B24020, 0x18031120
.long 0x81858105
.long 0xBF05CE05
.long 0xBF850209
.long 0x80605A60
.long 0x82615B61
.long 0xD0C6005C, 0x00000A80
.long 0xD100002B, 0x0172551A
.long 0xE054D000, 0x8018882B
.long 0xBF8C0F7E
.long 0xD3B24020, 0x18032120
.long 0x81858105
.long 0xBF05CE05
.long 0xBF8501FB
.long 0x80605A60
.long 0x82615B61
.long 0xD0C6005C, 0x00000A80
.long 0xD100002B, 0x0172551A
.long 0xE054D000, 0x8018902B
.long 0xBF8C0F7E
.long 0xD3B24020, 0x18033120
.long 0x81858105
.long 0xBF05CE05
.long 0xBF8501ED
.long 0x80605A60
.long 0x82615B61
.long 0xD0C6005C, 0x00000A80
.long 0xD100002B, 0x0172551A
.long 0xE054D000, 0x8018982B
.long 0xBF8C0F7E
.long 0xD3B24020, 0x18034120
.long 0x81858105
.long 0xBF05CE05
.long 0xBF8501DF
.long 0x80605A60
.long 0x82615B61
.long 0xD0C6005C, 0x00000A80
.long 0xD100002B, 0x0172551A
.long 0xE054D000, 0x8018A02B
.long 0xBF8C0F7E
.long 0xD3B24020, 0x18035120
.long 0x81858105
.long 0xBF05CE05
.long 0xBF8501D1
.long 0x80605A60
.long 0x82615B61
.long 0xD0C6005C, 0x00000A80
.long 0xD100002B, 0x0172551A
.long 0xE054D000, 0x8018A82B
.long 0xBF8C0F7E
.long 0xD3B24020, 0x18036120
.long 0x81858105
.long 0xBF05CE05
.long 0xBF8501C3
.long 0x80605A60
.long 0x82615B61
.long 0xD0C6005C, 0x00000A80
.long 0xD100002B, 0x0172551A
.long 0xE054D000, 0x8018B02B
.long 0xBF8C0F7E
.long 0xD3B24020, 0x18037120
.long 0x81858105
.long 0xBF05CE05
.long 0xBF8501B5
.long 0x80605A60
.long 0x82615B61
.long 0xD0C6005C, 0x00000A80
.long 0xD100002B, 0x0172551A
.long 0xE054D000, 0x8018B82B
.long 0xBF8C0F7E
.long 0xD3B24020, 0x18038120
.long 0x81858105
.long 0xBF05CE05
.long 0xBF8501A7
.long 0x80605A60
.long 0x82615B61
.long 0xD0C6005C, 0x00000A80
.long 0xD100002B, 0x0172551A
.long 0xE054D000, 0x8018C02B
.long 0xBF8C0F7E
.long 0xD3B24020, 0x18039120
.long 0x81858105
.long 0xBF05CE05
.long 0xBF850199
.long 0x80605A60
.long 0x82615B61
.long 0xD0C6005C, 0x00000A80
.long 0xD100002B, 0x0172551A
.long 0xE054D000, 0x8018C82B
.long 0xBF8C0F7E
.long 0xD3B24020, 0x1803A120
.long 0x81858105
.long 0xBF05CE05
.long 0xBF85018B
.long 0x80605A60
.long 0x82615B61
.long 0xD0C6005C, 0x00000A80
.long 0xD100002B, 0x0172551A
.long 0xE054D000, 0x8018D02B
.long 0xBF8C0F7E
.long 0xD3B24020, 0x1803B120
.long 0x81858105
.long 0xBF05CE05
.long 0xBF85017D
.long 0x80605A60
.long 0x82615B61
.long 0xD0C6005C, 0x00000A80
.long 0xD100002B, 0x0172551A
.long 0xE054D000, 0x8018D82B
.long 0xBF8C0F7E
.long 0xD3B24020, 0x1803C120
.long 0x81858105
.long 0xBF05CE05
.long 0xBF85016F
.long 0x80605A60
.long 0x82615B61
.long 0xD0C6005C, 0x00000A80
.long 0xD100002B, 0x0172551A
.long 0xE054D000, 0x8018E02B
.long 0xBF8C0F7E
.long 0xD3B24020, 0x1803D120
.long 0x81858105
.long 0xBF05CE05
.long 0xBF850161
.long 0x80605A60
.long 0x82615B61
.long 0xD0C6005C, 0x00000A80
.long 0xD100002B, 0x0172551A
.long 0xE054D000, 0x8018E82B
.long 0xBF8C0F7E
.long 0xD3B24020, 0x1803E120
.long 0x81858105
.long 0xBF05CE05
.long 0xBF850153
.long 0x80605A60
.long 0x82615B61
.long 0xD0C6005C, 0x00000A80
.long 0xD100002B, 0x0172551A
.long 0xE054D000, 0x8018F02B
.long 0xBF02CE05
.long 0xBF85FF2C
	;; [unrolled: 1-line block ×3, first 2 shown]
.long 0xD3B24020, 0x18030120
.long 0xBF8C0F7C
.long 0xD3B24020, 0x18031120
.long 0xBF8C0F7B
	;; [unrolled: 2-line block ×14, first 2 shown]
.long 0xBF8C0F7C
.long 0xD3B24020, 0x18030120
.long 0xBF8C0F7B
.long 0xD3B24020, 0x18031120
	;; [unrolled: 2-line block ×13, first 2 shown]
.long 0xBF8200F6
.long 0xBF8C0F7B
.long 0xD3B24020, 0x18030120
.long 0xBF8C0F7A
.long 0xD3B24020, 0x18031120
.long 0xBF8C0F79
.long 0xD3B24020, 0x18032120
.long 0xBF8C0F78
.long 0xD3B24020, 0x18033120
.long 0xBF8C0F77
.long 0xD3B24020, 0x18034120
.long 0xBF8C0F76
.long 0xD3B24020, 0x18035120
.long 0xBF8C0F75
.long 0xD3B24020, 0x18036120
.long 0xBF8C0F74
.long 0xD3B24020, 0x18037120
.long 0xBF8C0F73
.long 0xD3B24020, 0x18038120
.long 0xBF8C0F72
.long 0xD3B24020, 0x18039120
.long 0xBF8C0F71
.long 0xD3B24020, 0x1803A120
.long 0xBF8C0F70
.long 0xD3B24020, 0x1803B120
.long 0xBF8200D1
.long 0xBF8C0F7A
.long 0xD3B24020, 0x18030120
.long 0xBF8C0F79
.long 0xD3B24020, 0x18031120
	;; [unrolled: 2-line block ×11, first 2 shown]
.long 0xBF8200AF
.long 0xBF8C0F79
.long 0xD3B24020, 0x18030120
.long 0xBF8C0F78
.long 0xD3B24020, 0x18031120
	;; [unrolled: 2-line block ×10, first 2 shown]
.long 0xBF820090
.long 0xBF8C0F78
.long 0xD3B24020, 0x18030120
.long 0xBF8C0F77
.long 0xD3B24020, 0x18031120
	;; [unrolled: 2-line block ×9, first 2 shown]
.long 0xBF820074
.long 0xBF8C0F77
.long 0xD3B24020, 0x18030120
.long 0xBF8C0F76
.long 0xD3B24020, 0x18031120
	;; [unrolled: 2-line block ×8, first 2 shown]
.long 0xBF82005B
.long 0xBF8C0F76
.long 0xD3B24020, 0x18030120
.long 0xBF8C0F75
.long 0xD3B24020, 0x18031120
.long 0xBF8C0F74
.long 0xD3B24020, 0x18032120
.long 0xBF8C0F73
.long 0xD3B24020, 0x18033120
.long 0xBF8C0F72
.long 0xD3B24020, 0x18034120
.long 0xBF8C0F71
.long 0xD3B24020, 0x18035120
.long 0xBF8C0F70
.long 0xD3B24020, 0x18036120
.long 0xBF820045
.long 0xBF8C0F75
.long 0xD3B24020, 0x18030120
.long 0xBF8C0F74
.long 0xD3B24020, 0x18031120
	;; [unrolled: 2-line block ×6, first 2 shown]
.long 0xBF820032
.long 0xBF8C0F74
.long 0xD3B24020, 0x18030120
.long 0xBF8C0F73
.long 0xD3B24020, 0x18031120
	;; [unrolled: 2-line block ×5, first 2 shown]
.long 0xBF820022
.long 0xBF8C0F73
.long 0xD3B24020, 0x18030120
.long 0xBF8C0F72
.long 0xD3B24020, 0x18031120
	;; [unrolled: 2-line block ×4, first 2 shown]
.long 0xBF820015
.long 0xBF8C0F72
.long 0xD3B24020, 0x18030120
.long 0xBF8C0F71
.long 0xD3B24020, 0x18031120
	;; [unrolled: 2-line block ×3, first 2 shown]
.long 0xBF82000B
.long 0xBF8C0F71
.long 0xD3B24020, 0x18030120
.long 0xBF8C0F70
.long 0xD3B24020, 0x18031120
.long 0xBF820004
.long 0xBF8C0F70
.long 0xD3B24020, 0x18030120
.long 0xBF820000
.long 0x7E5402FF, 0x80000000
.long 0xBEE00016
.long 0xBEE10017
.long 0xBEE2000E
.long 0xBEE3000F
.long 0xE054D000, 0x80182822
.long 0xBE850032
.long 0x81858105
	;; [unrolled: 1-line block ×6, first 2 shown]
.long 0xE054D000, 0x80188022
.long 0x81858105
.long 0x80605A60
.long 0x82615B61
.long 0xBF008005
.long 0xBF850276
.long 0xE054D000, 0x80188822
.long 0x81858105
.long 0x80605A60
.long 0x82615B61
.long 0xBF008005
.long 0xBF850268
	;; [unrolled: 6-line block ×14, first 2 shown]
.long 0xE054D000, 0x8018F022
.long 0xBF8C0F7E
.long 0xD3B24028, 0x18030128
.long 0x81858105
.long 0xBF05CE05
.long 0xBF850217
.long 0x80605A60
.long 0x82615B61
.long 0xD0C6005C, 0x00000A80
.long 0xD100002B, 0x01725522
.long 0xE054D000, 0x8018802B
.long 0xBF8C0F7E
.long 0xD3B24028, 0x18031128
.long 0x81858105
.long 0xBF05CE05
.long 0xBF850209
.long 0x80605A60
.long 0x82615B61
.long 0xD0C6005C, 0x00000A80
.long 0xD100002B, 0x01725522
	;; [unrolled: 10-line block ×15, first 2 shown]
.long 0xE054D000, 0x8018F02B
.long 0xBF02CE05
.long 0xBF85FF2C
	;; [unrolled: 1-line block ×3, first 2 shown]
.long 0xD3B24028, 0x18030128
.long 0xBF8C0F7C
.long 0xD3B24028, 0x18031128
.long 0xBF8C0F7B
	;; [unrolled: 2-line block ×14, first 2 shown]
.long 0xBF8C0F7C
.long 0xD3B24028, 0x18030128
.long 0xBF8C0F7B
.long 0xD3B24028, 0x18031128
	;; [unrolled: 2-line block ×13, first 2 shown]
.long 0xBF8200F6
.long 0xBF8C0F7B
.long 0xD3B24028, 0x18030128
.long 0xBF8C0F7A
.long 0xD3B24028, 0x18031128
	;; [unrolled: 2-line block ×12, first 2 shown]
.long 0xBF8200D1
.long 0xBF8C0F7A
.long 0xD3B24028, 0x18030128
.long 0xBF8C0F79
.long 0xD3B24028, 0x18031128
	;; [unrolled: 2-line block ×11, first 2 shown]
.long 0xBF8200AF
.long 0xBF8C0F79
.long 0xD3B24028, 0x18030128
.long 0xBF8C0F78
.long 0xD3B24028, 0x18031128
	;; [unrolled: 2-line block ×10, first 2 shown]
.long 0xBF820090
.long 0xBF8C0F78
.long 0xD3B24028, 0x18030128
.long 0xBF8C0F77
.long 0xD3B24028, 0x18031128
	;; [unrolled: 2-line block ×9, first 2 shown]
.long 0xBF820074
.long 0xBF8C0F77
.long 0xD3B24028, 0x18030128
.long 0xBF8C0F76
.long 0xD3B24028, 0x18031128
	;; [unrolled: 2-line block ×8, first 2 shown]
.long 0xBF82005B
.long 0xBF8C0F76
.long 0xD3B24028, 0x18030128
.long 0xBF8C0F75
.long 0xD3B24028, 0x18031128
	;; [unrolled: 2-line block ×7, first 2 shown]
.long 0xBF820045
.long 0xBF8C0F75
.long 0xD3B24028, 0x18030128
.long 0xBF8C0F74
.long 0xD3B24028, 0x18031128
	;; [unrolled: 2-line block ×6, first 2 shown]
.long 0xBF820032
.long 0xBF8C0F74
.long 0xD3B24028, 0x18030128
.long 0xBF8C0F73
.long 0xD3B24028, 0x18031128
	;; [unrolled: 2-line block ×5, first 2 shown]
.long 0xBF820022
.long 0xBF8C0F73
.long 0xD3B24028, 0x18030128
.long 0xBF8C0F72
.long 0xD3B24028, 0x18031128
	;; [unrolled: 2-line block ×4, first 2 shown]
.long 0xBF820015
.long 0xBF8C0F72
.long 0xD3B24028, 0x18030128
.long 0xBF8C0F71
.long 0xD3B24028, 0x18031128
	;; [unrolled: 2-line block ×3, first 2 shown]
.long 0xBF82000B
.long 0xBF8C0F71
.long 0xD3B24028, 0x18030128
.long 0xBF8C0F70
.long 0xD3B24028, 0x18031128
.long 0xBF820004
.long 0xBF8C0F70
.long 0xD3B24028, 0x18030128
.long 0xBF820000
.long 0x0A202030
	;; [unrolled: 1-line block ×10, first 2 shown]
.long 0xD0CC0038, 0x0001004A
.long 0xD100000E, 0x00E21CF2
.long 0xD100000F, 0x00E21EF2
.long 0xD3B14010, 0x1802210E
.long 0xD3A00010, 0x14421431
.long 0xD3A01011, 0x14461431
.long 0xD3B24010, 0x1802210C
.long 0x0A0820FF, 0x3D372713
.long 0xD1CB0004, 0x03CA0910
.long 0x0A080910
.long 0x0A0808FF, 0x40135761
.long 0x7E084104
.long 0xBF800000
.long 0x020808F2
.long 0x7E084504
.long 0xBF800000
.long 0xD1CB0004, 0x03D208F5
.long 0x0A080910
.long 0x0A2008F0
.long 0x0A0822FF, 0x3D372713
.long 0xD1CB0004, 0x03CA0911
.long 0x0A080911
.long 0x0A0808FF, 0x40135761
.long 0x7E084104
.long 0xBF800000
.long 0x020808F2
.long 0x7E084504
.long 0xBF800000
.long 0xD1CB0004, 0x03D208F5
.long 0x0A080911
.long 0x0A2208F0
.long 0x7E201510
.long 0x7E221511
.long 0xD2A00010, 0x00022310
.long 0xE070D000, 0x80141007
.long 0xBF800000
.long 0xD0CC0038, 0x0001004A
.long 0xD100000E, 0x00E21CF2
.long 0xD100000F, 0x00E21EF2
.long 0xD3B14018, 0x1802310E
.long 0xD3A00018, 0x14622C31
.long 0xD3A01019, 0x14662C31
.long 0xD3B24018, 0x1802310C
.long 0x0A0830FF, 0x3D372713
.long 0xD1CB0004, 0x03CA0918
.long 0x0A080918
.long 0x0A0808FF, 0x40135761
.long 0x7E084104
.long 0xBF800000
.long 0x020808F2
.long 0x7E084504
.long 0xBF800000
.long 0xD1CB0004, 0x03D208F5
.long 0x0A080918
.long 0x0A3008F0
.long 0x0A0832FF, 0x3D372713
.long 0xD1CB0004, 0x03CA0919
.long 0x0A080919
.long 0x0A0808FF, 0x40135761
.long 0x7E084104
.long 0xBF800000
.long 0x020808F2
.long 0x7E084504
.long 0xBF800000
.long 0xD1CB0004, 0x03D208F5
.long 0x0A080919
.long 0x0A3208F0
.long 0x7E301518
.long 0x7E321519
.long 0xD2A00018, 0x00023318
.long 0xE070D000, 0x80141813
.long 0xBF800000
	;; [unrolled: 36-line block ×4, first 2 shown]
.long 0xBF800000
.long 0xBF823A1D
.long 0x7E5402FF, 0x80000000
.long 0xD0C90054, 0x00003900
	;; [unrolled: 1-line block ×3, first 2 shown]
.long 0x86D85854
.long 0xD1FE0006, 0x02060102
.long 0xD1000006, 0x01620D2A
	;; [unrolled: 1-line block ×5, first 2 shown]
.long 0x24101082
.long 0xD1000008, 0x0162112A
.long 0xBF8CC07F
.long 0xBF8A0000
.long 0xD8EC0000, 0x0C000008
.long 0x24120082
.long 0xE0541000, 0x80120E09
.long 0xD1FE0006, 0x020A0103
	;; [unrolled: 1-line block ×10, first 2 shown]
.long 0x86D85854
.long 0xD1FE0012, 0x02060102
.long 0xD1000012, 0x0162252A
.long 0xE0501000, 0x80041612
.long 0x925402FF, 0x00000080
.long 0xD1350014, 0x0000A900
.long 0x24282882
.long 0xD1000014, 0x0162292A
.long 0x242A0082
.long 0xD1FE0012, 0x020A0103
.long 0xD1000012, 0x0162252A
.long 0xD1FE0013, 0x02060103
.long 0xD1000013, 0x0162272A
.long 0xD1196A01, 0x00010301
.long 0xD1340002, 0x00005502
.long 0xD1340003, 0x00005103
.long 0xD0C90054, 0x00003900
.long 0xD0C90058, 0x00003B01
.long 0x86D85854
.long 0xD1FE001A, 0x02060102
.long 0xD100001A, 0x0162352A
.long 0xE0501000, 0x80041E1A
.long 0x925402FF, 0x00000080
.long 0xD135001C, 0x0000A900
.long 0x24383882
.long 0xD100001C, 0x0162392A
.long 0x243A0082
.long 0xD1FE001A, 0x020A0103
.long 0xD100001A, 0x0162352A
.long 0xD1FE001B, 0x02060103
.long 0xD100001B, 0x0162372A
.long 0xD1196A01, 0x00010301
.long 0xD1340002, 0x00005502
.long 0xD1340003, 0x00005103
.long 0xD0C90054, 0x00003900
.long 0xD0C90058, 0x00003B01
	;; [unrolled: 18-line block ×3, first 2 shown]
.long 0xD3D84021, 0x18000106
.long 0xD3D84028, 0x18000103
	;; [unrolled: 1-line block ×3, first 2 shown]
.long 0xBF800001
.long 0xE074D000, 0x80031006
.long 0xE074D000, 0x80031812
	;; [unrolled: 1-line block ×4, first 2 shown]
.long 0xBF800000
.long 0x92421415
	;; [unrolled: 1-line block ×16, first 2 shown]
.long 0xC2330CCC, 0x00000000
.long 0x965F811C
.long 0x925E811C
	;; [unrolled: 1-line block ×15, first 2 shown]
.long 0x7E5402FF, 0x80000000
.long 0xBEE00016
.long 0xBEE10017
	;; [unrolled: 1-line block ×7, first 2 shown]
.long 0xE054D000, 0x80181006
.long 0xBE850032
.long 0x81858105
	;; [unrolled: 1-line block ×6, first 2 shown]
.long 0xE054D000, 0x80188006
.long 0x81858105
.long 0x80605A60
.long 0x82615B61
.long 0xBF008005
.long 0xBF850276
.long 0xE054D000, 0x80188806
.long 0x81858105
.long 0x80605A60
.long 0x82615B61
.long 0xBF008005
.long 0xBF850268
	;; [unrolled: 6-line block ×14, first 2 shown]
.long 0xE054D000, 0x8018F006
.long 0xBF8C0F7E
.long 0xD3B24010, 0x18030110
.long 0x81858105
.long 0xBF05CE05
.long 0xBF850217
.long 0x80605A60
.long 0x82615B61
.long 0xD0C6005C, 0x00000A80
.long 0xD100002B, 0x01725506
.long 0xE054D000, 0x8018802B
.long 0xBF8C0F7E
.long 0xD3B24010, 0x18031110
.long 0x81858105
.long 0xBF05CE05
.long 0xBF850209
.long 0x80605A60
.long 0x82615B61
.long 0xD0C6005C, 0x00000A80
.long 0xD100002B, 0x01725506
.long 0xE054D000, 0x8018882B
.long 0xBF8C0F7E
.long 0xD3B24010, 0x18032110
.long 0x81858105
.long 0xBF05CE05
.long 0xBF8501FB
.long 0x80605A60
.long 0x82615B61
.long 0xD0C6005C, 0x00000A80
.long 0xD100002B, 0x01725506
.long 0xE054D000, 0x8018902B
.long 0xBF8C0F7E
.long 0xD3B24010, 0x18033110
.long 0x81858105
.long 0xBF05CE05
.long 0xBF8501ED
.long 0x80605A60
.long 0x82615B61
.long 0xD0C6005C, 0x00000A80
.long 0xD100002B, 0x01725506
.long 0xE054D000, 0x8018982B
.long 0xBF8C0F7E
.long 0xD3B24010, 0x18034110
.long 0x81858105
.long 0xBF05CE05
.long 0xBF8501DF
.long 0x80605A60
.long 0x82615B61
.long 0xD0C6005C, 0x00000A80
.long 0xD100002B, 0x01725506
.long 0xE054D000, 0x8018A02B
.long 0xBF8C0F7E
.long 0xD3B24010, 0x18035110
.long 0x81858105
.long 0xBF05CE05
.long 0xBF8501D1
.long 0x80605A60
.long 0x82615B61
.long 0xD0C6005C, 0x00000A80
.long 0xD100002B, 0x01725506
.long 0xE054D000, 0x8018A82B
.long 0xBF8C0F7E
.long 0xD3B24010, 0x18036110
.long 0x81858105
.long 0xBF05CE05
.long 0xBF8501C3
.long 0x80605A60
.long 0x82615B61
.long 0xD0C6005C, 0x00000A80
.long 0xD100002B, 0x01725506
.long 0xE054D000, 0x8018B02B
.long 0xBF8C0F7E
.long 0xD3B24010, 0x18037110
.long 0x81858105
.long 0xBF05CE05
.long 0xBF8501B5
.long 0x80605A60
.long 0x82615B61
.long 0xD0C6005C, 0x00000A80
.long 0xD100002B, 0x01725506
.long 0xE054D000, 0x8018B82B
.long 0xBF8C0F7E
.long 0xD3B24010, 0x18038110
.long 0x81858105
.long 0xBF05CE05
.long 0xBF8501A7
.long 0x80605A60
.long 0x82615B61
.long 0xD0C6005C, 0x00000A80
.long 0xD100002B, 0x01725506
.long 0xE054D000, 0x8018C02B
.long 0xBF8C0F7E
.long 0xD3B24010, 0x18039110
.long 0x81858105
.long 0xBF05CE05
.long 0xBF850199
.long 0x80605A60
.long 0x82615B61
.long 0xD0C6005C, 0x00000A80
.long 0xD100002B, 0x01725506
.long 0xE054D000, 0x8018C82B
.long 0xBF8C0F7E
.long 0xD3B24010, 0x1803A110
.long 0x81858105
.long 0xBF05CE05
.long 0xBF85018B
.long 0x80605A60
.long 0x82615B61
.long 0xD0C6005C, 0x00000A80
.long 0xD100002B, 0x01725506
.long 0xE054D000, 0x8018D02B
.long 0xBF8C0F7E
.long 0xD3B24010, 0x1803B110
.long 0x81858105
.long 0xBF05CE05
.long 0xBF85017D
.long 0x80605A60
.long 0x82615B61
.long 0xD0C6005C, 0x00000A80
.long 0xD100002B, 0x01725506
.long 0xE054D000, 0x8018D82B
.long 0xBF8C0F7E
.long 0xD3B24010, 0x1803C110
.long 0x81858105
.long 0xBF05CE05
.long 0xBF85016F
.long 0x80605A60
.long 0x82615B61
.long 0xD0C6005C, 0x00000A80
.long 0xD100002B, 0x01725506
.long 0xE054D000, 0x8018E02B
.long 0xBF8C0F7E
.long 0xD3B24010, 0x1803D110
.long 0x81858105
.long 0xBF05CE05
.long 0xBF850161
.long 0x80605A60
.long 0x82615B61
.long 0xD0C6005C, 0x00000A80
.long 0xD100002B, 0x01725506
.long 0xE054D000, 0x8018E82B
.long 0xBF8C0F7E
.long 0xD3B24010, 0x1803E110
.long 0x81858105
.long 0xBF05CE05
.long 0xBF850153
.long 0x80605A60
.long 0x82615B61
.long 0xD0C6005C, 0x00000A80
.long 0xD100002B, 0x01725506
.long 0xE054D000, 0x8018F02B
.long 0xBF02CE05
.long 0xBF85FF2C
.long 0xBF8C0F7D
.long 0xD3B24010, 0x18030110
.long 0xBF8C0F7C
.long 0xD3B24010, 0x18031110
.long 0xBF8C0F7B
	;; [unrolled: 2-line block ×14, first 2 shown]
.long 0xBF8C0F7C
.long 0xD3B24010, 0x18030110
.long 0xBF8C0F7B
.long 0xD3B24010, 0x18031110
	;; [unrolled: 2-line block ×13, first 2 shown]
.long 0xBF8200F6
.long 0xBF8C0F7B
.long 0xD3B24010, 0x18030110
.long 0xBF8C0F7A
.long 0xD3B24010, 0x18031110
	;; [unrolled: 2-line block ×12, first 2 shown]
.long 0xBF8200D1
.long 0xBF8C0F7A
.long 0xD3B24010, 0x18030110
.long 0xBF8C0F79
.long 0xD3B24010, 0x18031110
	;; [unrolled: 2-line block ×11, first 2 shown]
.long 0xBF8200AF
.long 0xBF8C0F79
.long 0xD3B24010, 0x18030110
.long 0xBF8C0F78
.long 0xD3B24010, 0x18031110
.long 0xBF8C0F77
.long 0xD3B24010, 0x18032110
.long 0xBF8C0F76
.long 0xD3B24010, 0x18033110
.long 0xBF8C0F75
.long 0xD3B24010, 0x18034110
.long 0xBF8C0F74
.long 0xD3B24010, 0x18035110
.long 0xBF8C0F73
.long 0xD3B24010, 0x18036110
.long 0xBF8C0F72
.long 0xD3B24010, 0x18037110
.long 0xBF8C0F71
.long 0xD3B24010, 0x18038110
.long 0xBF8C0F70
.long 0xD3B24010, 0x18039110
.long 0xBF820090
.long 0xBF8C0F78
.long 0xD3B24010, 0x18030110
.long 0xBF8C0F77
.long 0xD3B24010, 0x18031110
	;; [unrolled: 2-line block ×9, first 2 shown]
.long 0xBF820074
.long 0xBF8C0F77
.long 0xD3B24010, 0x18030110
.long 0xBF8C0F76
.long 0xD3B24010, 0x18031110
	;; [unrolled: 2-line block ×8, first 2 shown]
.long 0xBF82005B
.long 0xBF8C0F76
.long 0xD3B24010, 0x18030110
.long 0xBF8C0F75
.long 0xD3B24010, 0x18031110
	;; [unrolled: 2-line block ×7, first 2 shown]
.long 0xBF820045
.long 0xBF8C0F75
.long 0xD3B24010, 0x18030110
.long 0xBF8C0F74
.long 0xD3B24010, 0x18031110
	;; [unrolled: 2-line block ×6, first 2 shown]
.long 0xBF820032
.long 0xBF8C0F74
.long 0xD3B24010, 0x18030110
.long 0xBF8C0F73
.long 0xD3B24010, 0x18031110
	;; [unrolled: 2-line block ×5, first 2 shown]
.long 0xBF820022
.long 0xBF8C0F73
.long 0xD3B24010, 0x18030110
.long 0xBF8C0F72
.long 0xD3B24010, 0x18031110
	;; [unrolled: 2-line block ×4, first 2 shown]
.long 0xBF820015
.long 0xBF8C0F72
.long 0xD3B24010, 0x18030110
.long 0xBF8C0F71
.long 0xD3B24010, 0x18031110
	;; [unrolled: 2-line block ×3, first 2 shown]
.long 0xBF82000B
.long 0xBF8C0F71
.long 0xD3B24010, 0x18030110
.long 0xBF8C0F70
.long 0xD3B24010, 0x18031110
.long 0xBF820004
.long 0xBF8C0F70
.long 0xD3B24010, 0x18030110
.long 0xBF820000
.long 0x7E5402FF, 0x80000000
.long 0xBEE00016
.long 0xBEE10017
	;; [unrolled: 1-line block ×4, first 2 shown]
.long 0xE054D000, 0x80181812
.long 0xBE850032
.long 0x81858105
	;; [unrolled: 1-line block ×6, first 2 shown]
.long 0xE054D000, 0x80188012
.long 0x81858105
.long 0x80605A60
.long 0x82615B61
.long 0xBF008005
.long 0xBF850276
.long 0xE054D000, 0x80188812
.long 0x81858105
.long 0x80605A60
.long 0x82615B61
.long 0xBF008005
.long 0xBF850268
	;; [unrolled: 6-line block ×14, first 2 shown]
.long 0xE054D000, 0x8018F012
.long 0xBF8C0F7E
.long 0xD3B24018, 0x18030118
.long 0x81858105
.long 0xBF05CE05
.long 0xBF850217
.long 0x80605A60
.long 0x82615B61
.long 0xD0C6005C, 0x00000A80
.long 0xD100002B, 0x01725512
.long 0xE054D000, 0x8018802B
.long 0xBF8C0F7E
.long 0xD3B24018, 0x18031118
.long 0x81858105
.long 0xBF05CE05
.long 0xBF850209
.long 0x80605A60
.long 0x82615B61
.long 0xD0C6005C, 0x00000A80
.long 0xD100002B, 0x01725512
	;; [unrolled: 10-line block ×15, first 2 shown]
.long 0xE054D000, 0x8018F02B
.long 0xBF02CE05
.long 0xBF85FF2C
	;; [unrolled: 1-line block ×3, first 2 shown]
.long 0xD3B24018, 0x18030118
.long 0xBF8C0F7C
.long 0xD3B24018, 0x18031118
.long 0xBF8C0F7B
	;; [unrolled: 2-line block ×14, first 2 shown]
.long 0xBF8C0F7C
.long 0xD3B24018, 0x18030118
.long 0xBF8C0F7B
.long 0xD3B24018, 0x18031118
.long 0xBF8C0F7A
.long 0xD3B24018, 0x18032118
.long 0xBF8C0F79
.long 0xD3B24018, 0x18033118
.long 0xBF8C0F78
.long 0xD3B24018, 0x18034118
.long 0xBF8C0F77
.long 0xD3B24018, 0x18035118
.long 0xBF8C0F76
.long 0xD3B24018, 0x18036118
.long 0xBF8C0F75
.long 0xD3B24018, 0x18037118
.long 0xBF8C0F74
.long 0xD3B24018, 0x18038118
.long 0xBF8C0F73
.long 0xD3B24018, 0x18039118
.long 0xBF8C0F72
.long 0xD3B24018, 0x1803A118
.long 0xBF8C0F71
.long 0xD3B24018, 0x1803B118
.long 0xBF8C0F70
.long 0xD3B24018, 0x1803C118
.long 0xBF8200F6
.long 0xBF8C0F7B
.long 0xD3B24018, 0x18030118
.long 0xBF8C0F7A
.long 0xD3B24018, 0x18031118
	;; [unrolled: 2-line block ×12, first 2 shown]
.long 0xBF8200D1
.long 0xBF8C0F7A
.long 0xD3B24018, 0x18030118
.long 0xBF8C0F79
.long 0xD3B24018, 0x18031118
	;; [unrolled: 2-line block ×11, first 2 shown]
.long 0xBF8200AF
.long 0xBF8C0F79
.long 0xD3B24018, 0x18030118
.long 0xBF8C0F78
.long 0xD3B24018, 0x18031118
.long 0xBF8C0F77
.long 0xD3B24018, 0x18032118
.long 0xBF8C0F76
.long 0xD3B24018, 0x18033118
.long 0xBF8C0F75
.long 0xD3B24018, 0x18034118
.long 0xBF8C0F74
.long 0xD3B24018, 0x18035118
.long 0xBF8C0F73
.long 0xD3B24018, 0x18036118
.long 0xBF8C0F72
.long 0xD3B24018, 0x18037118
.long 0xBF8C0F71
.long 0xD3B24018, 0x18038118
.long 0xBF8C0F70
.long 0xD3B24018, 0x18039118
.long 0xBF820090
.long 0xBF8C0F78
.long 0xD3B24018, 0x18030118
.long 0xBF8C0F77
.long 0xD3B24018, 0x18031118
	;; [unrolled: 2-line block ×9, first 2 shown]
.long 0xBF820074
.long 0xBF8C0F77
.long 0xD3B24018, 0x18030118
.long 0xBF8C0F76
.long 0xD3B24018, 0x18031118
	;; [unrolled: 2-line block ×8, first 2 shown]
.long 0xBF82005B
.long 0xBF8C0F76
.long 0xD3B24018, 0x18030118
.long 0xBF8C0F75
.long 0xD3B24018, 0x18031118
	;; [unrolled: 2-line block ×7, first 2 shown]
.long 0xBF820045
.long 0xBF8C0F75
.long 0xD3B24018, 0x18030118
.long 0xBF8C0F74
.long 0xD3B24018, 0x18031118
	;; [unrolled: 2-line block ×6, first 2 shown]
.long 0xBF820032
.long 0xBF8C0F74
.long 0xD3B24018, 0x18030118
.long 0xBF8C0F73
.long 0xD3B24018, 0x18031118
	;; [unrolled: 2-line block ×5, first 2 shown]
.long 0xBF820022
.long 0xBF8C0F73
.long 0xD3B24018, 0x18030118
.long 0xBF8C0F72
.long 0xD3B24018, 0x18031118
	;; [unrolled: 2-line block ×4, first 2 shown]
.long 0xBF820015
.long 0xBF8C0F72
.long 0xD3B24018, 0x18030118
.long 0xBF8C0F71
.long 0xD3B24018, 0x18031118
	;; [unrolled: 2-line block ×3, first 2 shown]
.long 0xBF82000B
.long 0xBF8C0F71
.long 0xD3B24018, 0x18030118
.long 0xBF8C0F70
.long 0xD3B24018, 0x18031118
.long 0xBF820004
.long 0xBF8C0F70
.long 0xD3B24018, 0x18030118
.long 0xBF820000
.long 0x7E5402FF, 0x80000000
.long 0xBEE00016
.long 0xBEE10017
	;; [unrolled: 1-line block ×4, first 2 shown]
.long 0xE054D000, 0x8018201A
.long 0xBE850032
.long 0x81858105
	;; [unrolled: 1-line block ×6, first 2 shown]
.long 0xE054D000, 0x8018801A
.long 0x81858105
.long 0x80605A60
.long 0x82615B61
.long 0xBF008005
.long 0xBF850276
.long 0xE054D000, 0x8018881A
.long 0x81858105
.long 0x80605A60
.long 0x82615B61
.long 0xBF008005
.long 0xBF850268
	;; [unrolled: 6-line block ×14, first 2 shown]
.long 0xE054D000, 0x8018F01A
.long 0xBF8C0F7E
.long 0xD3B24020, 0x18030120
.long 0x81858105
.long 0xBF05CE05
.long 0xBF850217
.long 0x80605A60
.long 0x82615B61
.long 0xD0C6005C, 0x00000A80
.long 0xD100002B, 0x0172551A
.long 0xE054D000, 0x8018802B
.long 0xBF8C0F7E
.long 0xD3B24020, 0x18031120
.long 0x81858105
.long 0xBF05CE05
.long 0xBF850209
.long 0x80605A60
.long 0x82615B61
.long 0xD0C6005C, 0x00000A80
.long 0xD100002B, 0x0172551A
	;; [unrolled: 10-line block ×15, first 2 shown]
.long 0xE054D000, 0x8018F02B
.long 0xBF02CE05
.long 0xBF85FF2C
	;; [unrolled: 1-line block ×3, first 2 shown]
.long 0xD3B24020, 0x18030120
.long 0xBF8C0F7C
.long 0xD3B24020, 0x18031120
.long 0xBF8C0F7B
	;; [unrolled: 2-line block ×14, first 2 shown]
.long 0xBF8C0F7C
.long 0xD3B24020, 0x18030120
.long 0xBF8C0F7B
.long 0xD3B24020, 0x18031120
	;; [unrolled: 2-line block ×13, first 2 shown]
.long 0xBF8200F6
.long 0xBF8C0F7B
.long 0xD3B24020, 0x18030120
.long 0xBF8C0F7A
.long 0xD3B24020, 0x18031120
.long 0xBF8C0F79
.long 0xD3B24020, 0x18032120
.long 0xBF8C0F78
.long 0xD3B24020, 0x18033120
.long 0xBF8C0F77
.long 0xD3B24020, 0x18034120
.long 0xBF8C0F76
.long 0xD3B24020, 0x18035120
.long 0xBF8C0F75
.long 0xD3B24020, 0x18036120
.long 0xBF8C0F74
.long 0xD3B24020, 0x18037120
.long 0xBF8C0F73
.long 0xD3B24020, 0x18038120
.long 0xBF8C0F72
.long 0xD3B24020, 0x18039120
.long 0xBF8C0F71
.long 0xD3B24020, 0x1803A120
.long 0xBF8C0F70
.long 0xD3B24020, 0x1803B120
.long 0xBF8200D1
.long 0xBF8C0F7A
.long 0xD3B24020, 0x18030120
.long 0xBF8C0F79
.long 0xD3B24020, 0x18031120
.long 0xBF8C0F78
.long 0xD3B24020, 0x18032120
.long 0xBF8C0F77
.long 0xD3B24020, 0x18033120
.long 0xBF8C0F76
.long 0xD3B24020, 0x18034120
.long 0xBF8C0F75
.long 0xD3B24020, 0x18035120
.long 0xBF8C0F74
.long 0xD3B24020, 0x18036120
.long 0xBF8C0F73
.long 0xD3B24020, 0x18037120
.long 0xBF8C0F72
.long 0xD3B24020, 0x18038120
.long 0xBF8C0F71
.long 0xD3B24020, 0x18039120
.long 0xBF8C0F70
.long 0xD3B24020, 0x1803A120
.long 0xBF8200AF
.long 0xBF8C0F79
.long 0xD3B24020, 0x18030120
.long 0xBF8C0F78
.long 0xD3B24020, 0x18031120
	;; [unrolled: 2-line block ×10, first 2 shown]
.long 0xBF820090
.long 0xBF8C0F78
.long 0xD3B24020, 0x18030120
.long 0xBF8C0F77
.long 0xD3B24020, 0x18031120
	;; [unrolled: 2-line block ×9, first 2 shown]
.long 0xBF820074
.long 0xBF8C0F77
.long 0xD3B24020, 0x18030120
.long 0xBF8C0F76
.long 0xD3B24020, 0x18031120
	;; [unrolled: 2-line block ×8, first 2 shown]
.long 0xBF82005B
.long 0xBF8C0F76
.long 0xD3B24020, 0x18030120
.long 0xBF8C0F75
.long 0xD3B24020, 0x18031120
	;; [unrolled: 2-line block ×7, first 2 shown]
.long 0xBF820045
.long 0xBF8C0F75
.long 0xD3B24020, 0x18030120
.long 0xBF8C0F74
.long 0xD3B24020, 0x18031120
	;; [unrolled: 2-line block ×6, first 2 shown]
.long 0xBF820032
.long 0xBF8C0F74
.long 0xD3B24020, 0x18030120
.long 0xBF8C0F73
.long 0xD3B24020, 0x18031120
	;; [unrolled: 2-line block ×5, first 2 shown]
.long 0xBF820022
.long 0xBF8C0F73
.long 0xD3B24020, 0x18030120
.long 0xBF8C0F72
.long 0xD3B24020, 0x18031120
	;; [unrolled: 2-line block ×4, first 2 shown]
.long 0xBF820015
.long 0xBF8C0F72
.long 0xD3B24020, 0x18030120
.long 0xBF8C0F71
.long 0xD3B24020, 0x18031120
	;; [unrolled: 2-line block ×3, first 2 shown]
.long 0xBF82000B
.long 0xBF8C0F71
.long 0xD3B24020, 0x18030120
.long 0xBF8C0F70
.long 0xD3B24020, 0x18031120
.long 0xBF820004
.long 0xBF8C0F70
.long 0xD3B24020, 0x18030120
.long 0xBF820000
.long 0x7E5402FF, 0x80000000
.long 0xBEE00016
.long 0xBEE10017
	;; [unrolled: 1-line block ×4, first 2 shown]
.long 0xE054D000, 0x80182822
.long 0xBE850032
.long 0x81858105
	;; [unrolled: 1-line block ×6, first 2 shown]
.long 0xE054D000, 0x80188022
.long 0x81858105
.long 0x80605A60
.long 0x82615B61
.long 0xBF008005
.long 0xBF850276
.long 0xE054D000, 0x80188822
.long 0x81858105
.long 0x80605A60
.long 0x82615B61
.long 0xBF008005
.long 0xBF850268
	;; [unrolled: 6-line block ×14, first 2 shown]
.long 0xE054D000, 0x8018F022
.long 0xBF8C0F7E
.long 0xD3B24028, 0x18030128
.long 0x81858105
.long 0xBF05CE05
.long 0xBF850217
.long 0x80605A60
.long 0x82615B61
.long 0xD0C6005C, 0x00000A80
.long 0xD100002B, 0x01725522
.long 0xE054D000, 0x8018802B
.long 0xBF8C0F7E
.long 0xD3B24028, 0x18031128
.long 0x81858105
.long 0xBF05CE05
.long 0xBF850209
.long 0x80605A60
.long 0x82615B61
.long 0xD0C6005C, 0x00000A80
.long 0xD100002B, 0x01725522
	;; [unrolled: 10-line block ×15, first 2 shown]
.long 0xE054D000, 0x8018F02B
.long 0xBF02CE05
.long 0xBF85FF2C
	;; [unrolled: 1-line block ×3, first 2 shown]
.long 0xD3B24028, 0x18030128
.long 0xBF8C0F7C
.long 0xD3B24028, 0x18031128
.long 0xBF8C0F7B
	;; [unrolled: 2-line block ×14, first 2 shown]
.long 0xBF8C0F7C
.long 0xD3B24028, 0x18030128
.long 0xBF8C0F7B
.long 0xD3B24028, 0x18031128
.long 0xBF8C0F7A
.long 0xD3B24028, 0x18032128
.long 0xBF8C0F79
.long 0xD3B24028, 0x18033128
.long 0xBF8C0F78
.long 0xD3B24028, 0x18034128
.long 0xBF8C0F77
.long 0xD3B24028, 0x18035128
.long 0xBF8C0F76
.long 0xD3B24028, 0x18036128
.long 0xBF8C0F75
.long 0xD3B24028, 0x18037128
.long 0xBF8C0F74
.long 0xD3B24028, 0x18038128
.long 0xBF8C0F73
.long 0xD3B24028, 0x18039128
.long 0xBF8C0F72
.long 0xD3B24028, 0x1803A128
.long 0xBF8C0F71
.long 0xD3B24028, 0x1803B128
.long 0xBF8C0F70
.long 0xD3B24028, 0x1803C128
.long 0xBF8200F6
.long 0xBF8C0F7B
.long 0xD3B24028, 0x18030128
.long 0xBF8C0F7A
.long 0xD3B24028, 0x18031128
.long 0xBF8C0F79
.long 0xD3B24028, 0x18032128
.long 0xBF8C0F78
.long 0xD3B24028, 0x18033128
.long 0xBF8C0F77
.long 0xD3B24028, 0x18034128
.long 0xBF8C0F76
.long 0xD3B24028, 0x18035128
.long 0xBF8C0F75
.long 0xD3B24028, 0x18036128
.long 0xBF8C0F74
.long 0xD3B24028, 0x18037128
.long 0xBF8C0F73
.long 0xD3B24028, 0x18038128
.long 0xBF8C0F72
.long 0xD3B24028, 0x18039128
.long 0xBF8C0F71
.long 0xD3B24028, 0x1803A128
.long 0xBF8C0F70
.long 0xD3B24028, 0x1803B128
.long 0xBF8200D1
.long 0xBF8C0F7A
.long 0xD3B24028, 0x18030128
.long 0xBF8C0F79
.long 0xD3B24028, 0x18031128
	;; [unrolled: 2-line block ×11, first 2 shown]
.long 0xBF8200AF
.long 0xBF8C0F79
.long 0xD3B24028, 0x18030128
.long 0xBF8C0F78
.long 0xD3B24028, 0x18031128
	;; [unrolled: 2-line block ×10, first 2 shown]
.long 0xBF820090
.long 0xBF8C0F78
.long 0xD3B24028, 0x18030128
.long 0xBF8C0F77
.long 0xD3B24028, 0x18031128
	;; [unrolled: 2-line block ×9, first 2 shown]
.long 0xBF820074
.long 0xBF8C0F77
.long 0xD3B24028, 0x18030128
.long 0xBF8C0F76
.long 0xD3B24028, 0x18031128
	;; [unrolled: 2-line block ×8, first 2 shown]
.long 0xBF82005B
.long 0xBF8C0F76
.long 0xD3B24028, 0x18030128
.long 0xBF8C0F75
.long 0xD3B24028, 0x18031128
	;; [unrolled: 2-line block ×7, first 2 shown]
.long 0xBF820045
.long 0xBF8C0F75
.long 0xD3B24028, 0x18030128
.long 0xBF8C0F74
.long 0xD3B24028, 0x18031128
	;; [unrolled: 2-line block ×6, first 2 shown]
.long 0xBF820032
.long 0xBF8C0F74
.long 0xD3B24028, 0x18030128
.long 0xBF8C0F73
.long 0xD3B24028, 0x18031128
.long 0xBF8C0F72
.long 0xD3B24028, 0x18032128
.long 0xBF8C0F71
.long 0xD3B24028, 0x18033128
.long 0xBF8C0F70
.long 0xD3B24028, 0x18034128
.long 0xBF820022
.long 0xBF8C0F73
.long 0xD3B24028, 0x18030128
.long 0xBF8C0F72
.long 0xD3B24028, 0x18031128
	;; [unrolled: 2-line block ×4, first 2 shown]
.long 0xBF820015
.long 0xBF8C0F72
.long 0xD3B24028, 0x18030128
.long 0xBF8C0F71
.long 0xD3B24028, 0x18031128
.long 0xBF8C0F70
.long 0xD3B24028, 0x18032128
.long 0xBF82000B
.long 0xBF8C0F71
.long 0xD3B24028, 0x18030128
.long 0xBF8C0F70
.long 0xD3B24028, 0x18031128
.long 0xBF820004
.long 0xBF8C0F70
.long 0xD3B24028, 0x18030128
.long 0xBF820000
.long 0x0A202030
.long 0x0A222230
.long 0x0A303030
.long 0x0A323230
.long 0x0A404030
.long 0x0A424230
.long 0x0A505030
.long 0x0A525230
.long 0xBF8C0000
.long 0xD0CC0038, 0x0001004A
.long 0xD100000E, 0x00E21CF2
.long 0xD100000F, 0x00E21EF2
.long 0xD3B14010, 0x1802210E
.long 0xD3A00010, 0x14421431
.long 0xD3A01011, 0x14461431
.long 0xD3B24010, 0x1802210C
.long 0x0A08203E
.long 0xD046006A, 0x00010110
.long 0x00202104
.long 0x0A08223E
.long 0xD046006A, 0x00010111
.long 0x00222304
.long 0x7E201510
.long 0x7E221511
.long 0xD2A00010, 0x00022310
.long 0xE070D000, 0x80141007
.long 0xBF800000
.long 0xD0CC0038, 0x0001004A
.long 0xD100000E, 0x00E21CF2
.long 0xD100000F, 0x00E21EF2
.long 0xD3B14018, 0x1802310E
.long 0xD3A00018, 0x14622C31
.long 0xD3A01019, 0x14662C31
.long 0xD3B24018, 0x1802310C
.long 0x0A08303E
.long 0xD046006A, 0x00010118
.long 0x00303104
.long 0x0A08323E
.long 0xD046006A, 0x00010119
.long 0x00323304
.long 0x7E301518
.long 0x7E321519
.long 0xD2A00018, 0x00023318
.long 0xE070D000, 0x80141813
.long 0xBF800000
	;; [unrolled: 18-line block ×4, first 2 shown]
.long 0xBF800000
.long 0xBF822E9F
.long 0x7E5402FF, 0x80000000
.long 0xD0C90054, 0x00003900
	;; [unrolled: 1-line block ×3, first 2 shown]
.long 0x86D85854
.long 0xD1FE0006, 0x02060102
.long 0xD1000006, 0x01620D2A
	;; [unrolled: 1-line block ×5, first 2 shown]
.long 0x24101082
.long 0xD1000008, 0x0162112A
.long 0xBF8CC07F
.long 0xBF8A0000
.long 0xD8EC0000, 0x0C000008
.long 0x24120082
.long 0xE0541000, 0x80120E09
.long 0xD1FE0006, 0x020A0103
	;; [unrolled: 1-line block ×10, first 2 shown]
.long 0x86D85854
.long 0xD1FE0012, 0x02060102
.long 0xD1000012, 0x0162252A
.long 0xE0501000, 0x80041612
.long 0x925402FF, 0x00000080
.long 0xD1350014, 0x0000A900
.long 0x24282882
.long 0xD1000014, 0x0162292A
.long 0x242A0082
.long 0xD1FE0012, 0x020A0103
.long 0xD1000012, 0x0162252A
.long 0xD1FE0013, 0x02060103
.long 0xD1000013, 0x0162272A
.long 0xD1196A01, 0x00010301
.long 0xD1340002, 0x00005502
.long 0xD1340003, 0x00005103
.long 0xD0C90054, 0x00003900
.long 0xD0C90058, 0x00003B01
.long 0x86D85854
.long 0xD1FE001A, 0x02060102
.long 0xD100001A, 0x0162352A
.long 0xE0501000, 0x80041E1A
.long 0x925402FF, 0x00000080
.long 0xD135001C, 0x0000A900
.long 0x24383882
.long 0xD100001C, 0x0162392A
.long 0x243A0082
.long 0xD1FE001A, 0x020A0103
.long 0xD100001A, 0x0162352A
.long 0xD1FE001B, 0x02060103
.long 0xD100001B, 0x0162372A
.long 0xD1196A01, 0x00010301
.long 0xD1340002, 0x00005502
.long 0xD1340003, 0x00005103
.long 0xD0C90054, 0x00003900
.long 0xD0C90058, 0x00003B01
	;; [unrolled: 18-line block ×3, first 2 shown]
.long 0xD3D84021, 0x18000106
.long 0xD3D84028, 0x18000103
.long 0xD3D84029, 0x18000107
.long 0xBF800001
.long 0xE074D000, 0x80031006
.long 0xE074D000, 0x80031812
	;; [unrolled: 1-line block ×4, first 2 shown]
.long 0xBF800000
.long 0x92421415
	;; [unrolled: 1-line block ×16, first 2 shown]
.long 0xC2330CCC, 0x00000000
.long 0x965F811C
.long 0x925E811C
	;; [unrolled: 1-line block ×15, first 2 shown]
.long 0x7E5402FF, 0x80000000
.long 0xBEE00016
.long 0xBEE10017
	;; [unrolled: 1-line block ×7, first 2 shown]
.long 0xE054D000, 0x80181006
.long 0xBE850032
.long 0x81858105
	;; [unrolled: 1-line block ×6, first 2 shown]
.long 0xE054D000, 0x80188006
.long 0x81858105
.long 0x80605A60
.long 0x82615B61
.long 0xBF008005
.long 0xBF850276
.long 0xE054D000, 0x80188806
.long 0x81858105
.long 0x80605A60
.long 0x82615B61
.long 0xBF008005
.long 0xBF850268
	;; [unrolled: 6-line block ×14, first 2 shown]
.long 0xE054D000, 0x8018F006
.long 0xBF8C0F7E
.long 0xD3B24010, 0x18030110
.long 0x81858105
.long 0xBF05CE05
.long 0xBF850217
.long 0x80605A60
.long 0x82615B61
.long 0xD0C6005C, 0x00000A80
.long 0xD100002B, 0x01725506
.long 0xE054D000, 0x8018802B
.long 0xBF8C0F7E
.long 0xD3B24010, 0x18031110
.long 0x81858105
.long 0xBF05CE05
.long 0xBF850209
.long 0x80605A60
.long 0x82615B61
.long 0xD0C6005C, 0x00000A80
.long 0xD100002B, 0x01725506
	;; [unrolled: 10-line block ×15, first 2 shown]
.long 0xE054D000, 0x8018F02B
.long 0xBF02CE05
.long 0xBF85FF2C
	;; [unrolled: 1-line block ×3, first 2 shown]
.long 0xD3B24010, 0x18030110
.long 0xBF8C0F7C
.long 0xD3B24010, 0x18031110
.long 0xBF8C0F7B
	;; [unrolled: 2-line block ×14, first 2 shown]
.long 0xBF8C0F7C
.long 0xD3B24010, 0x18030110
.long 0xBF8C0F7B
.long 0xD3B24010, 0x18031110
	;; [unrolled: 2-line block ×13, first 2 shown]
.long 0xBF8200F6
.long 0xBF8C0F7B
.long 0xD3B24010, 0x18030110
.long 0xBF8C0F7A
.long 0xD3B24010, 0x18031110
	;; [unrolled: 2-line block ×12, first 2 shown]
.long 0xBF8200D1
.long 0xBF8C0F7A
.long 0xD3B24010, 0x18030110
.long 0xBF8C0F79
.long 0xD3B24010, 0x18031110
.long 0xBF8C0F78
.long 0xD3B24010, 0x18032110
.long 0xBF8C0F77
.long 0xD3B24010, 0x18033110
.long 0xBF8C0F76
.long 0xD3B24010, 0x18034110
.long 0xBF8C0F75
.long 0xD3B24010, 0x18035110
.long 0xBF8C0F74
.long 0xD3B24010, 0x18036110
.long 0xBF8C0F73
.long 0xD3B24010, 0x18037110
.long 0xBF8C0F72
.long 0xD3B24010, 0x18038110
.long 0xBF8C0F71
.long 0xD3B24010, 0x18039110
.long 0xBF8C0F70
.long 0xD3B24010, 0x1803A110
.long 0xBF8200AF
.long 0xBF8C0F79
.long 0xD3B24010, 0x18030110
.long 0xBF8C0F78
.long 0xD3B24010, 0x18031110
	;; [unrolled: 2-line block ×10, first 2 shown]
.long 0xBF820090
.long 0xBF8C0F78
.long 0xD3B24010, 0x18030110
.long 0xBF8C0F77
.long 0xD3B24010, 0x18031110
	;; [unrolled: 2-line block ×9, first 2 shown]
.long 0xBF820074
.long 0xBF8C0F77
.long 0xD3B24010, 0x18030110
.long 0xBF8C0F76
.long 0xD3B24010, 0x18031110
	;; [unrolled: 2-line block ×8, first 2 shown]
.long 0xBF82005B
.long 0xBF8C0F76
.long 0xD3B24010, 0x18030110
.long 0xBF8C0F75
.long 0xD3B24010, 0x18031110
	;; [unrolled: 2-line block ×7, first 2 shown]
.long 0xBF820045
.long 0xBF8C0F75
.long 0xD3B24010, 0x18030110
.long 0xBF8C0F74
.long 0xD3B24010, 0x18031110
	;; [unrolled: 2-line block ×6, first 2 shown]
.long 0xBF820032
.long 0xBF8C0F74
.long 0xD3B24010, 0x18030110
.long 0xBF8C0F73
.long 0xD3B24010, 0x18031110
	;; [unrolled: 2-line block ×5, first 2 shown]
.long 0xBF820022
.long 0xBF8C0F73
.long 0xD3B24010, 0x18030110
.long 0xBF8C0F72
.long 0xD3B24010, 0x18031110
	;; [unrolled: 2-line block ×4, first 2 shown]
.long 0xBF820015
.long 0xBF8C0F72
.long 0xD3B24010, 0x18030110
.long 0xBF8C0F71
.long 0xD3B24010, 0x18031110
	;; [unrolled: 2-line block ×3, first 2 shown]
.long 0xBF82000B
.long 0xBF8C0F71
.long 0xD3B24010, 0x18030110
.long 0xBF8C0F70
.long 0xD3B24010, 0x18031110
.long 0xBF820004
.long 0xBF8C0F70
.long 0xD3B24010, 0x18030110
.long 0xBF820000
.long 0x7E5402FF, 0x80000000
.long 0xBEE00016
.long 0xBEE10017
	;; [unrolled: 1-line block ×4, first 2 shown]
.long 0xE054D000, 0x80181812
.long 0xBE850032
.long 0x81858105
	;; [unrolled: 1-line block ×6, first 2 shown]
.long 0xE054D000, 0x80188012
.long 0x81858105
.long 0x80605A60
.long 0x82615B61
.long 0xBF008005
.long 0xBF850276
.long 0xE054D000, 0x80188812
.long 0x81858105
.long 0x80605A60
.long 0x82615B61
.long 0xBF008005
.long 0xBF850268
	;; [unrolled: 6-line block ×14, first 2 shown]
.long 0xE054D000, 0x8018F012
.long 0xBF8C0F7E
.long 0xD3B24018, 0x18030118
.long 0x81858105
.long 0xBF05CE05
.long 0xBF850217
.long 0x80605A60
.long 0x82615B61
.long 0xD0C6005C, 0x00000A80
.long 0xD100002B, 0x01725512
.long 0xE054D000, 0x8018802B
.long 0xBF8C0F7E
.long 0xD3B24018, 0x18031118
.long 0x81858105
.long 0xBF05CE05
.long 0xBF850209
.long 0x80605A60
.long 0x82615B61
.long 0xD0C6005C, 0x00000A80
.long 0xD100002B, 0x01725512
	;; [unrolled: 10-line block ×15, first 2 shown]
.long 0xE054D000, 0x8018F02B
.long 0xBF02CE05
.long 0xBF85FF2C
	;; [unrolled: 1-line block ×3, first 2 shown]
.long 0xD3B24018, 0x18030118
.long 0xBF8C0F7C
.long 0xD3B24018, 0x18031118
.long 0xBF8C0F7B
	;; [unrolled: 2-line block ×14, first 2 shown]
.long 0xBF8C0F7C
.long 0xD3B24018, 0x18030118
.long 0xBF8C0F7B
.long 0xD3B24018, 0x18031118
	;; [unrolled: 2-line block ×13, first 2 shown]
.long 0xBF8200F6
.long 0xBF8C0F7B
.long 0xD3B24018, 0x18030118
.long 0xBF8C0F7A
.long 0xD3B24018, 0x18031118
	;; [unrolled: 2-line block ×12, first 2 shown]
.long 0xBF8200D1
.long 0xBF8C0F7A
.long 0xD3B24018, 0x18030118
.long 0xBF8C0F79
.long 0xD3B24018, 0x18031118
	;; [unrolled: 2-line block ×11, first 2 shown]
.long 0xBF8200AF
.long 0xBF8C0F79
.long 0xD3B24018, 0x18030118
.long 0xBF8C0F78
.long 0xD3B24018, 0x18031118
	;; [unrolled: 2-line block ×10, first 2 shown]
.long 0xBF820090
.long 0xBF8C0F78
.long 0xD3B24018, 0x18030118
.long 0xBF8C0F77
.long 0xD3B24018, 0x18031118
	;; [unrolled: 2-line block ×9, first 2 shown]
.long 0xBF820074
.long 0xBF8C0F77
.long 0xD3B24018, 0x18030118
.long 0xBF8C0F76
.long 0xD3B24018, 0x18031118
.long 0xBF8C0F75
.long 0xD3B24018, 0x18032118
.long 0xBF8C0F74
.long 0xD3B24018, 0x18033118
.long 0xBF8C0F73
.long 0xD3B24018, 0x18034118
.long 0xBF8C0F72
.long 0xD3B24018, 0x18035118
.long 0xBF8C0F71
.long 0xD3B24018, 0x18036118
.long 0xBF8C0F70
.long 0xD3B24018, 0x18037118
.long 0xBF82005B
.long 0xBF8C0F76
.long 0xD3B24018, 0x18030118
.long 0xBF8C0F75
.long 0xD3B24018, 0x18031118
	;; [unrolled: 2-line block ×7, first 2 shown]
.long 0xBF820045
.long 0xBF8C0F75
.long 0xD3B24018, 0x18030118
.long 0xBF8C0F74
.long 0xD3B24018, 0x18031118
	;; [unrolled: 2-line block ×6, first 2 shown]
.long 0xBF820032
.long 0xBF8C0F74
.long 0xD3B24018, 0x18030118
.long 0xBF8C0F73
.long 0xD3B24018, 0x18031118
	;; [unrolled: 2-line block ×5, first 2 shown]
.long 0xBF820022
.long 0xBF8C0F73
.long 0xD3B24018, 0x18030118
.long 0xBF8C0F72
.long 0xD3B24018, 0x18031118
	;; [unrolled: 2-line block ×4, first 2 shown]
.long 0xBF820015
.long 0xBF8C0F72
.long 0xD3B24018, 0x18030118
.long 0xBF8C0F71
.long 0xD3B24018, 0x18031118
	;; [unrolled: 2-line block ×3, first 2 shown]
.long 0xBF82000B
.long 0xBF8C0F71
.long 0xD3B24018, 0x18030118
.long 0xBF8C0F70
.long 0xD3B24018, 0x18031118
.long 0xBF820004
.long 0xBF8C0F70
.long 0xD3B24018, 0x18030118
.long 0xBF820000
.long 0x7E5402FF, 0x80000000
.long 0xBEE00016
.long 0xBEE10017
	;; [unrolled: 1-line block ×4, first 2 shown]
.long 0xE054D000, 0x8018201A
.long 0xBE850032
.long 0x81858105
	;; [unrolled: 1-line block ×6, first 2 shown]
.long 0xE054D000, 0x8018801A
.long 0x81858105
.long 0x80605A60
.long 0x82615B61
.long 0xBF008005
.long 0xBF850276
.long 0xE054D000, 0x8018881A
.long 0x81858105
.long 0x80605A60
.long 0x82615B61
.long 0xBF008005
.long 0xBF850268
.long 0xE054D000, 0x8018901A
.long 0x81858105
.long 0x80605A60
.long 0x82615B61
.long 0xBF008005
.long 0xBF850257
.long 0xE054D000, 0x8018981A
.long 0x81858105
.long 0x80605A60
.long 0x82615B61
.long 0xBF008005
.long 0xBF850243
.long 0xE054D000, 0x8018A01A
.long 0x81858105
.long 0x80605A60
.long 0x82615B61
.long 0xBF008005
.long 0xBF85022C
.long 0xE054D000, 0x8018A81A
.long 0x81858105
.long 0x80605A60
.long 0x82615B61
.long 0xBF008005
.long 0xBF850212
.long 0xE054D000, 0x8018B01A
.long 0x81858105
.long 0x80605A60
.long 0x82615B61
.long 0xBF008005
.long 0xBF8501F5
.long 0xE054D000, 0x8018B81A
.long 0x81858105
.long 0x80605A60
.long 0x82615B61
.long 0xBF008005
.long 0xBF8501D5
.long 0xE054D000, 0x8018C01A
.long 0x81858105
.long 0x80605A60
.long 0x82615B61
.long 0xBF008005
.long 0xBF8501B2
.long 0xE054D000, 0x8018C81A
.long 0x81858105
.long 0x80605A60
.long 0x82615B61
.long 0xBF008005
.long 0xBF85018C
.long 0xE054D000, 0x8018D01A
.long 0x81858105
.long 0x80605A60
.long 0x82615B61
.long 0xBF008005
.long 0xBF850163
.long 0xE054D000, 0x8018D81A
.long 0x81858105
.long 0x80605A60
.long 0x82615B61
.long 0xBF008005
.long 0xBF850137
.long 0xE054D000, 0x8018E01A
.long 0x81858105
.long 0x80605A60
.long 0x82615B61
.long 0xBF008005
.long 0xBF850108
.long 0xE054D000, 0x8018E81A
.long 0x81858105
.long 0x80605A60
.long 0x82615B61
.long 0xBF008005
.long 0xBF8500D6
.long 0xE054D000, 0x8018F01A
.long 0xBF8C0F7E
.long 0xD3B24020, 0x18030120
.long 0x81858105
.long 0xBF05CE05
.long 0xBF850217
.long 0x80605A60
.long 0x82615B61
.long 0xD0C6005C, 0x00000A80
.long 0xD100002B, 0x0172551A
.long 0xE054D000, 0x8018802B
.long 0xBF8C0F7E
.long 0xD3B24020, 0x18031120
.long 0x81858105
.long 0xBF05CE05
.long 0xBF850209
.long 0x80605A60
.long 0x82615B61
.long 0xD0C6005C, 0x00000A80
.long 0xD100002B, 0x0172551A
	;; [unrolled: 10-line block ×15, first 2 shown]
.long 0xE054D000, 0x8018F02B
.long 0xBF02CE05
.long 0xBF85FF2C
.long 0xBF8C0F7D
.long 0xD3B24020, 0x18030120
.long 0xBF8C0F7C
.long 0xD3B24020, 0x18031120
.long 0xBF8C0F7B
	;; [unrolled: 2-line block ×14, first 2 shown]
.long 0xBF8C0F7C
.long 0xD3B24020, 0x18030120
.long 0xBF8C0F7B
.long 0xD3B24020, 0x18031120
	;; [unrolled: 2-line block ×13, first 2 shown]
.long 0xBF8200F6
.long 0xBF8C0F7B
.long 0xD3B24020, 0x18030120
.long 0xBF8C0F7A
.long 0xD3B24020, 0x18031120
	;; [unrolled: 2-line block ×12, first 2 shown]
.long 0xBF8200D1
.long 0xBF8C0F7A
.long 0xD3B24020, 0x18030120
.long 0xBF8C0F79
.long 0xD3B24020, 0x18031120
	;; [unrolled: 2-line block ×11, first 2 shown]
.long 0xBF8200AF
.long 0xBF8C0F79
.long 0xD3B24020, 0x18030120
.long 0xBF8C0F78
.long 0xD3B24020, 0x18031120
.long 0xBF8C0F77
.long 0xD3B24020, 0x18032120
.long 0xBF8C0F76
.long 0xD3B24020, 0x18033120
.long 0xBF8C0F75
.long 0xD3B24020, 0x18034120
.long 0xBF8C0F74
.long 0xD3B24020, 0x18035120
.long 0xBF8C0F73
.long 0xD3B24020, 0x18036120
.long 0xBF8C0F72
.long 0xD3B24020, 0x18037120
.long 0xBF8C0F71
.long 0xD3B24020, 0x18038120
.long 0xBF8C0F70
.long 0xD3B24020, 0x18039120
.long 0xBF820090
.long 0xBF8C0F78
.long 0xD3B24020, 0x18030120
.long 0xBF8C0F77
.long 0xD3B24020, 0x18031120
	;; [unrolled: 2-line block ×9, first 2 shown]
.long 0xBF820074
.long 0xBF8C0F77
.long 0xD3B24020, 0x18030120
.long 0xBF8C0F76
.long 0xD3B24020, 0x18031120
	;; [unrolled: 2-line block ×8, first 2 shown]
.long 0xBF82005B
.long 0xBF8C0F76
.long 0xD3B24020, 0x18030120
.long 0xBF8C0F75
.long 0xD3B24020, 0x18031120
	;; [unrolled: 2-line block ×7, first 2 shown]
.long 0xBF820045
.long 0xBF8C0F75
.long 0xD3B24020, 0x18030120
.long 0xBF8C0F74
.long 0xD3B24020, 0x18031120
	;; [unrolled: 2-line block ×6, first 2 shown]
.long 0xBF820032
.long 0xBF8C0F74
.long 0xD3B24020, 0x18030120
.long 0xBF8C0F73
.long 0xD3B24020, 0x18031120
	;; [unrolled: 2-line block ×5, first 2 shown]
.long 0xBF820022
.long 0xBF8C0F73
.long 0xD3B24020, 0x18030120
.long 0xBF8C0F72
.long 0xD3B24020, 0x18031120
.long 0xBF8C0F71
.long 0xD3B24020, 0x18032120
.long 0xBF8C0F70
.long 0xD3B24020, 0x18033120
.long 0xBF820015
.long 0xBF8C0F72
.long 0xD3B24020, 0x18030120
.long 0xBF8C0F71
.long 0xD3B24020, 0x18031120
	;; [unrolled: 2-line block ×3, first 2 shown]
.long 0xBF82000B
.long 0xBF8C0F71
.long 0xD3B24020, 0x18030120
.long 0xBF8C0F70
.long 0xD3B24020, 0x18031120
.long 0xBF820004
.long 0xBF8C0F70
.long 0xD3B24020, 0x18030120
.long 0xBF820000
.long 0x7E5402FF, 0x80000000
.long 0xBEE00016
.long 0xBEE10017
	;; [unrolled: 1-line block ×4, first 2 shown]
.long 0xE054D000, 0x80182822
.long 0xBE850032
.long 0x81858105
	;; [unrolled: 1-line block ×6, first 2 shown]
.long 0xE054D000, 0x80188022
.long 0x81858105
.long 0x80605A60
.long 0x82615B61
.long 0xBF008005
.long 0xBF850276
.long 0xE054D000, 0x80188822
.long 0x81858105
.long 0x80605A60
.long 0x82615B61
.long 0xBF008005
.long 0xBF850268
	;; [unrolled: 6-line block ×14, first 2 shown]
.long 0xE054D000, 0x8018F022
.long 0xBF8C0F7E
.long 0xD3B24028, 0x18030128
.long 0x81858105
.long 0xBF05CE05
.long 0xBF850217
.long 0x80605A60
.long 0x82615B61
.long 0xD0C6005C, 0x00000A80
.long 0xD100002B, 0x01725522
.long 0xE054D000, 0x8018802B
.long 0xBF8C0F7E
.long 0xD3B24028, 0x18031128
.long 0x81858105
.long 0xBF05CE05
.long 0xBF850209
.long 0x80605A60
.long 0x82615B61
.long 0xD0C6005C, 0x00000A80
.long 0xD100002B, 0x01725522
	;; [unrolled: 10-line block ×15, first 2 shown]
.long 0xE054D000, 0x8018F02B
.long 0xBF02CE05
.long 0xBF85FF2C
	;; [unrolled: 1-line block ×3, first 2 shown]
.long 0xD3B24028, 0x18030128
.long 0xBF8C0F7C
.long 0xD3B24028, 0x18031128
.long 0xBF8C0F7B
	;; [unrolled: 2-line block ×14, first 2 shown]
.long 0xBF8C0F7C
.long 0xD3B24028, 0x18030128
.long 0xBF8C0F7B
.long 0xD3B24028, 0x18031128
	;; [unrolled: 2-line block ×13, first 2 shown]
.long 0xBF8200F6
.long 0xBF8C0F7B
.long 0xD3B24028, 0x18030128
.long 0xBF8C0F7A
.long 0xD3B24028, 0x18031128
	;; [unrolled: 2-line block ×12, first 2 shown]
.long 0xBF8200D1
.long 0xBF8C0F7A
.long 0xD3B24028, 0x18030128
.long 0xBF8C0F79
.long 0xD3B24028, 0x18031128
	;; [unrolled: 2-line block ×11, first 2 shown]
.long 0xBF8200AF
.long 0xBF8C0F79
.long 0xD3B24028, 0x18030128
.long 0xBF8C0F78
.long 0xD3B24028, 0x18031128
	;; [unrolled: 2-line block ×10, first 2 shown]
.long 0xBF820090
.long 0xBF8C0F78
.long 0xD3B24028, 0x18030128
.long 0xBF8C0F77
.long 0xD3B24028, 0x18031128
	;; [unrolled: 2-line block ×9, first 2 shown]
.long 0xBF820074
.long 0xBF8C0F77
.long 0xD3B24028, 0x18030128
.long 0xBF8C0F76
.long 0xD3B24028, 0x18031128
	;; [unrolled: 2-line block ×8, first 2 shown]
.long 0xBF82005B
.long 0xBF8C0F76
.long 0xD3B24028, 0x18030128
.long 0xBF8C0F75
.long 0xD3B24028, 0x18031128
.long 0xBF8C0F74
.long 0xD3B24028, 0x18032128
.long 0xBF8C0F73
.long 0xD3B24028, 0x18033128
.long 0xBF8C0F72
.long 0xD3B24028, 0x18034128
.long 0xBF8C0F71
.long 0xD3B24028, 0x18035128
.long 0xBF8C0F70
.long 0xD3B24028, 0x18036128
.long 0xBF820045
.long 0xBF8C0F75
.long 0xD3B24028, 0x18030128
.long 0xBF8C0F74
.long 0xD3B24028, 0x18031128
	;; [unrolled: 2-line block ×6, first 2 shown]
.long 0xBF820032
.long 0xBF8C0F74
.long 0xD3B24028, 0x18030128
.long 0xBF8C0F73
.long 0xD3B24028, 0x18031128
	;; [unrolled: 2-line block ×5, first 2 shown]
.long 0xBF820022
.long 0xBF8C0F73
.long 0xD3B24028, 0x18030128
.long 0xBF8C0F72
.long 0xD3B24028, 0x18031128
	;; [unrolled: 2-line block ×4, first 2 shown]
.long 0xBF820015
.long 0xBF8C0F72
.long 0xD3B24028, 0x18030128
.long 0xBF8C0F71
.long 0xD3B24028, 0x18031128
	;; [unrolled: 2-line block ×3, first 2 shown]
.long 0xBF82000B
.long 0xBF8C0F71
.long 0xD3B24028, 0x18030128
.long 0xBF8C0F70
.long 0xD3B24028, 0x18031128
.long 0xBF820004
.long 0xBF8C0F70
.long 0xD3B24028, 0x18030128
.long 0xBF820000
.long 0x0A202030
	;; [unrolled: 1-line block ×10, first 2 shown]
.long 0xD0CC0038, 0x0001004A
.long 0xD100000E, 0x00E21CF2
.long 0xD100000F, 0x00E21EF2
.long 0xD3B14010, 0x1802210E
.long 0xD3A00010, 0x14421431
.long 0xD3A01011, 0x14461431
.long 0xD3B24010, 0x1802210C
.long 0xD10B0010, 0x00010110
.long 0xD10B0011, 0x00010111
.long 0x7E201510
.long 0x7E221511
.long 0xD2A00010, 0x00022310
.long 0xE070D000, 0x80141007
.long 0xBF800000
.long 0xD0CC0038, 0x0001004A
.long 0xD100000E, 0x00E21CF2
.long 0xD100000F, 0x00E21EF2
.long 0xD3B14018, 0x1802310E
.long 0xD3A00018, 0x14622C31
.long 0xD3A01019, 0x14662C31
.long 0xD3B24018, 0x1802310C
.long 0xD10B0018, 0x00010118
.long 0xD10B0019, 0x00010119
.long 0x7E301518
.long 0x7E321519
.long 0xD2A00018, 0x00023318
.long 0xE070D000, 0x80141813
.long 0xBF800000
.long 0xD0CC0038, 0x0001004A
.long 0xD100000E, 0x00E21CF2
.long 0xD100000F, 0x00E21EF2
.long 0xD3B14020, 0x1802410E
.long 0xD3A00020, 0x14823C31
.long 0xD3A01021, 0x14863C31
.long 0xD3B24020, 0x1802410C
.long 0xD10B0020, 0x00010120
.long 0xD10B0021, 0x00010121
.long 0x7E401520
.long 0x7E421521
.long 0xD2A00020, 0x00024320
.long 0xE070D000, 0x8014201B
.long 0xBF800000
.long 0xD0CC0038, 0x0001004A
.long 0xD100000E, 0x00E21CF2
.long 0xD100000F, 0x00E21EF2
.long 0xD3B14028, 0x1802510E
.long 0xD3A00028, 0x14A24C31
.long 0xD3A01029, 0x14A64C31
.long 0xD3B24028, 0x1802510C
.long 0xD10B0028, 0x00010128
.long 0xD10B0029, 0x00010129
.long 0x7E501528
.long 0x7E521529
.long 0xD2A00028, 0x00025328
.long 0xE070D000, 0x80142823
.long 0xBF800000
.long 0xBF800000
.long 0xBF822331
.long 0x7E5402FF, 0x80000000
.long 0xD0C90054, 0x00003900
.long 0xD0C90058, 0x00003B01
.long 0x86D85854
.long 0xD1FE0006, 0x02060102
.long 0xD1000006, 0x01620D2A
	;; [unrolled: 1-line block ×5, first 2 shown]
.long 0x24101082
.long 0xD1000008, 0x0162112A
.long 0xBF8CC07F
.long 0xBF8A0000
.long 0xD8EC0000, 0x0C000008
.long 0x24120082
.long 0xE0541000, 0x80120E09
.long 0xD1FE0006, 0x020A0103
	;; [unrolled: 1-line block ×10, first 2 shown]
.long 0x86D85854
.long 0xD1FE0012, 0x02060102
.long 0xD1000012, 0x0162252A
.long 0xE0501000, 0x80041612
.long 0x925402FF, 0x00000080
.long 0xD1350014, 0x0000A900
.long 0x24282882
.long 0xD1000014, 0x0162292A
.long 0x242A0082
.long 0xD1FE0012, 0x020A0103
.long 0xD1000012, 0x0162252A
.long 0xD1FE0013, 0x02060103
.long 0xD1000013, 0x0162272A
.long 0xD1196A01, 0x00010301
.long 0xD1340002, 0x00005502
.long 0xD1340003, 0x00005103
.long 0xD0C90054, 0x00003900
.long 0xD0C90058, 0x00003B01
.long 0x86D85854
.long 0xD1FE001A, 0x02060102
.long 0xD100001A, 0x0162352A
.long 0xE0501000, 0x80041E1A
.long 0x925402FF, 0x00000080
.long 0xD135001C, 0x0000A900
.long 0x24383882
.long 0xD100001C, 0x0162392A
.long 0x243A0082
.long 0xD1FE001A, 0x020A0103
.long 0xD100001A, 0x0162352A
.long 0xD1FE001B, 0x02060103
.long 0xD100001B, 0x0162372A
.long 0xD1196A01, 0x00010301
.long 0xD1340002, 0x00005502
.long 0xD1340003, 0x00005103
.long 0xD0C90054, 0x00003900
.long 0xD0C90058, 0x00003B01
	;; [unrolled: 18-line block ×3, first 2 shown]
.long 0xD3D84021, 0x18000106
.long 0xD3D84028, 0x18000103
	;; [unrolled: 1-line block ×3, first 2 shown]
.long 0xBF800001
.long 0xE074D000, 0x80031006
.long 0xE074D000, 0x80031812
	;; [unrolled: 1-line block ×4, first 2 shown]
.long 0xBF800000
.long 0x92421415
	;; [unrolled: 1-line block ×16, first 2 shown]
.long 0xC2330CCC, 0x00000000
.long 0x965F811C
.long 0x925E811C
	;; [unrolled: 1-line block ×15, first 2 shown]
.long 0x7E5402FF, 0x80000000
.long 0xBEE00016
.long 0xBEE10017
	;; [unrolled: 1-line block ×7, first 2 shown]
.long 0xE054D000, 0x80181006
.long 0xBE850032
.long 0x81858105
	;; [unrolled: 1-line block ×6, first 2 shown]
.long 0xE054D000, 0x80188006
.long 0x81858105
.long 0x80605A60
.long 0x82615B61
.long 0xBF008005
.long 0xBF850276
.long 0xE054D000, 0x80188806
.long 0x81858105
.long 0x80605A60
.long 0x82615B61
.long 0xBF008005
.long 0xBF850268
	;; [unrolled: 6-line block ×14, first 2 shown]
.long 0xE054D000, 0x8018F006
.long 0xBF8C0F7E
.long 0xD3B24010, 0x18030110
.long 0x81858105
.long 0xBF05CE05
.long 0xBF850217
.long 0x80605A60
.long 0x82615B61
.long 0xD0C6005C, 0x00000A80
.long 0xD100002B, 0x01725506
.long 0xE054D000, 0x8018802B
.long 0xBF8C0F7E
.long 0xD3B24010, 0x18031110
.long 0x81858105
.long 0xBF05CE05
.long 0xBF850209
.long 0x80605A60
.long 0x82615B61
.long 0xD0C6005C, 0x00000A80
.long 0xD100002B, 0x01725506
	;; [unrolled: 10-line block ×15, first 2 shown]
.long 0xE054D000, 0x8018F02B
.long 0xBF02CE05
.long 0xBF85FF2C
.long 0xBF8C0F7D
.long 0xD3B24010, 0x18030110
.long 0xBF8C0F7C
.long 0xD3B24010, 0x18031110
.long 0xBF8C0F7B
	;; [unrolled: 2-line block ×14, first 2 shown]
.long 0xBF8C0F7C
.long 0xD3B24010, 0x18030110
.long 0xBF8C0F7B
.long 0xD3B24010, 0x18031110
	;; [unrolled: 2-line block ×13, first 2 shown]
.long 0xBF8200F6
.long 0xBF8C0F7B
.long 0xD3B24010, 0x18030110
.long 0xBF8C0F7A
.long 0xD3B24010, 0x18031110
	;; [unrolled: 2-line block ×12, first 2 shown]
.long 0xBF8200D1
.long 0xBF8C0F7A
.long 0xD3B24010, 0x18030110
.long 0xBF8C0F79
.long 0xD3B24010, 0x18031110
	;; [unrolled: 2-line block ×11, first 2 shown]
.long 0xBF8200AF
.long 0xBF8C0F79
.long 0xD3B24010, 0x18030110
.long 0xBF8C0F78
.long 0xD3B24010, 0x18031110
	;; [unrolled: 2-line block ×10, first 2 shown]
.long 0xBF820090
.long 0xBF8C0F78
.long 0xD3B24010, 0x18030110
.long 0xBF8C0F77
.long 0xD3B24010, 0x18031110
	;; [unrolled: 2-line block ×9, first 2 shown]
.long 0xBF820074
.long 0xBF8C0F77
.long 0xD3B24010, 0x18030110
.long 0xBF8C0F76
.long 0xD3B24010, 0x18031110
	;; [unrolled: 2-line block ×8, first 2 shown]
.long 0xBF82005B
.long 0xBF8C0F76
.long 0xD3B24010, 0x18030110
.long 0xBF8C0F75
.long 0xD3B24010, 0x18031110
.long 0xBF8C0F74
.long 0xD3B24010, 0x18032110
.long 0xBF8C0F73
.long 0xD3B24010, 0x18033110
.long 0xBF8C0F72
.long 0xD3B24010, 0x18034110
.long 0xBF8C0F71
.long 0xD3B24010, 0x18035110
.long 0xBF8C0F70
.long 0xD3B24010, 0x18036110
.long 0xBF820045
.long 0xBF8C0F75
.long 0xD3B24010, 0x18030110
.long 0xBF8C0F74
.long 0xD3B24010, 0x18031110
	;; [unrolled: 2-line block ×6, first 2 shown]
.long 0xBF820032
.long 0xBF8C0F74
.long 0xD3B24010, 0x18030110
.long 0xBF8C0F73
.long 0xD3B24010, 0x18031110
	;; [unrolled: 2-line block ×5, first 2 shown]
.long 0xBF820022
.long 0xBF8C0F73
.long 0xD3B24010, 0x18030110
.long 0xBF8C0F72
.long 0xD3B24010, 0x18031110
	;; [unrolled: 2-line block ×4, first 2 shown]
.long 0xBF820015
.long 0xBF8C0F72
.long 0xD3B24010, 0x18030110
.long 0xBF8C0F71
.long 0xD3B24010, 0x18031110
.long 0xBF8C0F70
.long 0xD3B24010, 0x18032110
.long 0xBF82000B
.long 0xBF8C0F71
.long 0xD3B24010, 0x18030110
.long 0xBF8C0F70
.long 0xD3B24010, 0x18031110
.long 0xBF820004
.long 0xBF8C0F70
.long 0xD3B24010, 0x18030110
.long 0xBF820000
.long 0x7E5402FF, 0x80000000
.long 0xBEE00016
.long 0xBEE10017
	;; [unrolled: 1-line block ×4, first 2 shown]
.long 0xE054D000, 0x80181812
.long 0xBE850032
.long 0x81858105
	;; [unrolled: 1-line block ×6, first 2 shown]
.long 0xE054D000, 0x80188012
.long 0x81858105
.long 0x80605A60
.long 0x82615B61
.long 0xBF008005
.long 0xBF850276
.long 0xE054D000, 0x80188812
.long 0x81858105
.long 0x80605A60
.long 0x82615B61
.long 0xBF008005
.long 0xBF850268
	;; [unrolled: 6-line block ×14, first 2 shown]
.long 0xE054D000, 0x8018F012
.long 0xBF8C0F7E
.long 0xD3B24018, 0x18030118
.long 0x81858105
.long 0xBF05CE05
.long 0xBF850217
.long 0x80605A60
.long 0x82615B61
.long 0xD0C6005C, 0x00000A80
.long 0xD100002B, 0x01725512
.long 0xE054D000, 0x8018802B
.long 0xBF8C0F7E
.long 0xD3B24018, 0x18031118
.long 0x81858105
.long 0xBF05CE05
.long 0xBF850209
.long 0x80605A60
.long 0x82615B61
.long 0xD0C6005C, 0x00000A80
.long 0xD100002B, 0x01725512
	;; [unrolled: 10-line block ×15, first 2 shown]
.long 0xE054D000, 0x8018F02B
.long 0xBF02CE05
.long 0xBF85FF2C
	;; [unrolled: 1-line block ×3, first 2 shown]
.long 0xD3B24018, 0x18030118
.long 0xBF8C0F7C
.long 0xD3B24018, 0x18031118
.long 0xBF8C0F7B
	;; [unrolled: 2-line block ×14, first 2 shown]
.long 0xBF8C0F7C
.long 0xD3B24018, 0x18030118
.long 0xBF8C0F7B
.long 0xD3B24018, 0x18031118
	;; [unrolled: 2-line block ×13, first 2 shown]
.long 0xBF8200F6
.long 0xBF8C0F7B
.long 0xD3B24018, 0x18030118
.long 0xBF8C0F7A
.long 0xD3B24018, 0x18031118
	;; [unrolled: 2-line block ×12, first 2 shown]
.long 0xBF8200D1
.long 0xBF8C0F7A
.long 0xD3B24018, 0x18030118
.long 0xBF8C0F79
.long 0xD3B24018, 0x18031118
	;; [unrolled: 2-line block ×11, first 2 shown]
.long 0xBF8200AF
.long 0xBF8C0F79
.long 0xD3B24018, 0x18030118
.long 0xBF8C0F78
.long 0xD3B24018, 0x18031118
	;; [unrolled: 2-line block ×10, first 2 shown]
.long 0xBF820090
.long 0xBF8C0F78
.long 0xD3B24018, 0x18030118
.long 0xBF8C0F77
.long 0xD3B24018, 0x18031118
	;; [unrolled: 2-line block ×9, first 2 shown]
.long 0xBF820074
.long 0xBF8C0F77
.long 0xD3B24018, 0x18030118
.long 0xBF8C0F76
.long 0xD3B24018, 0x18031118
	;; [unrolled: 2-line block ×8, first 2 shown]
.long 0xBF82005B
.long 0xBF8C0F76
.long 0xD3B24018, 0x18030118
.long 0xBF8C0F75
.long 0xD3B24018, 0x18031118
	;; [unrolled: 2-line block ×7, first 2 shown]
.long 0xBF820045
.long 0xBF8C0F75
.long 0xD3B24018, 0x18030118
.long 0xBF8C0F74
.long 0xD3B24018, 0x18031118
	;; [unrolled: 2-line block ×6, first 2 shown]
.long 0xBF820032
.long 0xBF8C0F74
.long 0xD3B24018, 0x18030118
.long 0xBF8C0F73
.long 0xD3B24018, 0x18031118
.long 0xBF8C0F72
.long 0xD3B24018, 0x18032118
.long 0xBF8C0F71
.long 0xD3B24018, 0x18033118
.long 0xBF8C0F70
.long 0xD3B24018, 0x18034118
.long 0xBF820022
.long 0xBF8C0F73
.long 0xD3B24018, 0x18030118
.long 0xBF8C0F72
.long 0xD3B24018, 0x18031118
	;; [unrolled: 2-line block ×4, first 2 shown]
.long 0xBF820015
.long 0xBF8C0F72
.long 0xD3B24018, 0x18030118
.long 0xBF8C0F71
.long 0xD3B24018, 0x18031118
	;; [unrolled: 2-line block ×3, first 2 shown]
.long 0xBF82000B
.long 0xBF8C0F71
.long 0xD3B24018, 0x18030118
.long 0xBF8C0F70
.long 0xD3B24018, 0x18031118
.long 0xBF820004
.long 0xBF8C0F70
.long 0xD3B24018, 0x18030118
.long 0xBF820000
.long 0x7E5402FF, 0x80000000
.long 0xBEE00016
.long 0xBEE10017
	;; [unrolled: 1-line block ×4, first 2 shown]
.long 0xE054D000, 0x8018201A
.long 0xBE850032
.long 0x81858105
	;; [unrolled: 1-line block ×6, first 2 shown]
.long 0xE054D000, 0x8018801A
.long 0x81858105
.long 0x80605A60
.long 0x82615B61
.long 0xBF008005
.long 0xBF850276
.long 0xE054D000, 0x8018881A
.long 0x81858105
.long 0x80605A60
.long 0x82615B61
.long 0xBF008005
.long 0xBF850268
	;; [unrolled: 6-line block ×14, first 2 shown]
.long 0xE054D000, 0x8018F01A
.long 0xBF8C0F7E
.long 0xD3B24020, 0x18030120
.long 0x81858105
.long 0xBF05CE05
.long 0xBF850217
.long 0x80605A60
.long 0x82615B61
.long 0xD0C6005C, 0x00000A80
.long 0xD100002B, 0x0172551A
.long 0xE054D000, 0x8018802B
.long 0xBF8C0F7E
.long 0xD3B24020, 0x18031120
.long 0x81858105
.long 0xBF05CE05
.long 0xBF850209
.long 0x80605A60
.long 0x82615B61
.long 0xD0C6005C, 0x00000A80
.long 0xD100002B, 0x0172551A
	;; [unrolled: 10-line block ×15, first 2 shown]
.long 0xE054D000, 0x8018F02B
.long 0xBF02CE05
.long 0xBF85FF2C
	;; [unrolled: 1-line block ×3, first 2 shown]
.long 0xD3B24020, 0x18030120
.long 0xBF8C0F7C
.long 0xD3B24020, 0x18031120
.long 0xBF8C0F7B
	;; [unrolled: 2-line block ×14, first 2 shown]
.long 0xBF8C0F7C
.long 0xD3B24020, 0x18030120
.long 0xBF8C0F7B
.long 0xD3B24020, 0x18031120
	;; [unrolled: 2-line block ×13, first 2 shown]
.long 0xBF8200F6
.long 0xBF8C0F7B
.long 0xD3B24020, 0x18030120
.long 0xBF8C0F7A
.long 0xD3B24020, 0x18031120
	;; [unrolled: 2-line block ×12, first 2 shown]
.long 0xBF8200D1
.long 0xBF8C0F7A
.long 0xD3B24020, 0x18030120
.long 0xBF8C0F79
.long 0xD3B24020, 0x18031120
	;; [unrolled: 2-line block ×11, first 2 shown]
.long 0xBF8200AF
.long 0xBF8C0F79
.long 0xD3B24020, 0x18030120
.long 0xBF8C0F78
.long 0xD3B24020, 0x18031120
	;; [unrolled: 2-line block ×10, first 2 shown]
.long 0xBF820090
.long 0xBF8C0F78
.long 0xD3B24020, 0x18030120
.long 0xBF8C0F77
.long 0xD3B24020, 0x18031120
	;; [unrolled: 2-line block ×9, first 2 shown]
.long 0xBF820074
.long 0xBF8C0F77
.long 0xD3B24020, 0x18030120
.long 0xBF8C0F76
.long 0xD3B24020, 0x18031120
	;; [unrolled: 2-line block ×8, first 2 shown]
.long 0xBF82005B
.long 0xBF8C0F76
.long 0xD3B24020, 0x18030120
.long 0xBF8C0F75
.long 0xD3B24020, 0x18031120
	;; [unrolled: 2-line block ×7, first 2 shown]
.long 0xBF820045
.long 0xBF8C0F75
.long 0xD3B24020, 0x18030120
.long 0xBF8C0F74
.long 0xD3B24020, 0x18031120
	;; [unrolled: 2-line block ×6, first 2 shown]
.long 0xBF820032
.long 0xBF8C0F74
.long 0xD3B24020, 0x18030120
.long 0xBF8C0F73
.long 0xD3B24020, 0x18031120
	;; [unrolled: 2-line block ×5, first 2 shown]
.long 0xBF820022
.long 0xBF8C0F73
.long 0xD3B24020, 0x18030120
.long 0xBF8C0F72
.long 0xD3B24020, 0x18031120
	;; [unrolled: 2-line block ×4, first 2 shown]
.long 0xBF820015
.long 0xBF8C0F72
.long 0xD3B24020, 0x18030120
.long 0xBF8C0F71
.long 0xD3B24020, 0x18031120
	;; [unrolled: 2-line block ×3, first 2 shown]
.long 0xBF82000B
.long 0xBF8C0F71
.long 0xD3B24020, 0x18030120
.long 0xBF8C0F70
.long 0xD3B24020, 0x18031120
.long 0xBF820004
.long 0xBF8C0F70
.long 0xD3B24020, 0x18030120
.long 0xBF820000
.long 0x7E5402FF, 0x80000000
.long 0xBEE00016
.long 0xBEE10017
	;; [unrolled: 1-line block ×4, first 2 shown]
.long 0xE054D000, 0x80182822
.long 0xBE850032
.long 0x81858105
	;; [unrolled: 1-line block ×6, first 2 shown]
.long 0xE054D000, 0x80188022
.long 0x81858105
.long 0x80605A60
.long 0x82615B61
.long 0xBF008005
.long 0xBF850276
.long 0xE054D000, 0x80188822
.long 0x81858105
.long 0x80605A60
.long 0x82615B61
.long 0xBF008005
.long 0xBF850268
	;; [unrolled: 6-line block ×14, first 2 shown]
.long 0xE054D000, 0x8018F022
.long 0xBF8C0F7E
.long 0xD3B24028, 0x18030128
.long 0x81858105
.long 0xBF05CE05
.long 0xBF850217
.long 0x80605A60
.long 0x82615B61
.long 0xD0C6005C, 0x00000A80
.long 0xD100002B, 0x01725522
.long 0xE054D000, 0x8018802B
.long 0xBF8C0F7E
.long 0xD3B24028, 0x18031128
.long 0x81858105
.long 0xBF05CE05
.long 0xBF850209
.long 0x80605A60
.long 0x82615B61
.long 0xD0C6005C, 0x00000A80
.long 0xD100002B, 0x01725522
	;; [unrolled: 10-line block ×15, first 2 shown]
.long 0xE054D000, 0x8018F02B
.long 0xBF02CE05
.long 0xBF85FF2C
	;; [unrolled: 1-line block ×3, first 2 shown]
.long 0xD3B24028, 0x18030128
.long 0xBF8C0F7C
.long 0xD3B24028, 0x18031128
.long 0xBF8C0F7B
	;; [unrolled: 2-line block ×14, first 2 shown]
.long 0xBF8C0F7C
.long 0xD3B24028, 0x18030128
.long 0xBF8C0F7B
.long 0xD3B24028, 0x18031128
	;; [unrolled: 2-line block ×13, first 2 shown]
.long 0xBF8200F6
.long 0xBF8C0F7B
.long 0xD3B24028, 0x18030128
.long 0xBF8C0F7A
.long 0xD3B24028, 0x18031128
	;; [unrolled: 2-line block ×12, first 2 shown]
.long 0xBF8200D1
.long 0xBF8C0F7A
.long 0xD3B24028, 0x18030128
.long 0xBF8C0F79
.long 0xD3B24028, 0x18031128
	;; [unrolled: 2-line block ×11, first 2 shown]
.long 0xBF8200AF
.long 0xBF8C0F79
.long 0xD3B24028, 0x18030128
.long 0xBF8C0F78
.long 0xD3B24028, 0x18031128
	;; [unrolled: 2-line block ×10, first 2 shown]
.long 0xBF820090
.long 0xBF8C0F78
.long 0xD3B24028, 0x18030128
.long 0xBF8C0F77
.long 0xD3B24028, 0x18031128
	;; [unrolled: 2-line block ×9, first 2 shown]
.long 0xBF820074
.long 0xBF8C0F77
.long 0xD3B24028, 0x18030128
.long 0xBF8C0F76
.long 0xD3B24028, 0x18031128
	;; [unrolled: 2-line block ×8, first 2 shown]
.long 0xBF82005B
.long 0xBF8C0F76
.long 0xD3B24028, 0x18030128
.long 0xBF8C0F75
.long 0xD3B24028, 0x18031128
	;; [unrolled: 2-line block ×7, first 2 shown]
.long 0xBF820045
.long 0xBF8C0F75
.long 0xD3B24028, 0x18030128
.long 0xBF8C0F74
.long 0xD3B24028, 0x18031128
	;; [unrolled: 2-line block ×6, first 2 shown]
.long 0xBF820032
.long 0xBF8C0F74
.long 0xD3B24028, 0x18030128
.long 0xBF8C0F73
.long 0xD3B24028, 0x18031128
	;; [unrolled: 2-line block ×5, first 2 shown]
.long 0xBF820022
.long 0xBF8C0F73
.long 0xD3B24028, 0x18030128
.long 0xBF8C0F72
.long 0xD3B24028, 0x18031128
	;; [unrolled: 2-line block ×4, first 2 shown]
.long 0xBF820015
.long 0xBF8C0F72
.long 0xD3B24028, 0x18030128
.long 0xBF8C0F71
.long 0xD3B24028, 0x18031128
	;; [unrolled: 2-line block ×3, first 2 shown]
.long 0xBF82000B
.long 0xBF8C0F71
.long 0xD3B24028, 0x18030128
.long 0xBF8C0F70
.long 0xD3B24028, 0x18031128
.long 0xBF820004
.long 0xBF8C0F70
.long 0xD3B24028, 0x18030128
.long 0xBF820000
.long 0x0A202030
	;; [unrolled: 1-line block ×10, first 2 shown]
.long 0xD0CC0038, 0x0001004A
.long 0xD100000E, 0x00E21CF2
.long 0xD100000F, 0x00E21EF2
.long 0xD3B14010, 0x1802210E
.long 0xD3A00010, 0x14421431
.long 0xD3A01011, 0x14461431
.long 0xD3B24010, 0x1802210C
.long 0x0A2020FF, 0xBFB8AA3B
.long 0x7E204110
.long 0xBF800000
.long 0x022020F2
.long 0x7E204510
.long 0xBF800000
.long 0x0A2222FF, 0xBFB8AA3B
.long 0x7E224111
.long 0xBF800000
.long 0x022222F2
.long 0x7E224511
.long 0xBF800000
.long 0x7E201510
.long 0x7E221511
.long 0xD2A00010, 0x00022310
.long 0xE070D000, 0x80141007
.long 0xBF800000
.long 0xD0CC0038, 0x0001004A
.long 0xD100000E, 0x00E21CF2
.long 0xD100000F, 0x00E21EF2
.long 0xD3B14018, 0x1802310E
.long 0xD3A00018, 0x14622C31
.long 0xD3A01019, 0x14662C31
.long 0xD3B24018, 0x1802310C
.long 0x0A3030FF, 0xBFB8AA3B
.long 0x7E304118
.long 0xBF800000
.long 0x023030F2
.long 0x7E304518
.long 0xBF800000
.long 0x0A3232FF, 0xBFB8AA3B
.long 0x7E324119
.long 0xBF800000
.long 0x023232F2
.long 0x7E324519
.long 0xBF800000
.long 0x7E301518
.long 0x7E321519
.long 0xD2A00018, 0x00023318
.long 0xE070D000, 0x80141813
.long 0xBF800000
	;; [unrolled: 24-line block ×4, first 2 shown]
.long 0xBF800000
.long 0xBF82179B
.long 0x7E5402FF, 0x80000000
.long 0xD0C90054, 0x00003900
	;; [unrolled: 1-line block ×3, first 2 shown]
.long 0x86D85854
.long 0xD1FE0006, 0x02060102
.long 0xD1000006, 0x01620D2A
	;; [unrolled: 1-line block ×5, first 2 shown]
.long 0x24101082
.long 0xD1000008, 0x0162112A
.long 0xBF8CC07F
.long 0xBF8A0000
.long 0xD8EC0000, 0x0C000008
.long 0x24120082
.long 0xE0541000, 0x80120E09
.long 0xD1FE0006, 0x020A0103
.long 0xD1000006, 0x01620D2A
.long 0xD1FE0007, 0x02060103
.long 0xD1000007, 0x01620F2A
.long 0xD1196A01, 0x00010301
.long 0xD1340002, 0x00005502
.long 0xD1340003, 0x00005103
.long 0xD0C90054, 0x00003900
.long 0xD0C90058, 0x00003B01
.long 0x86D85854
.long 0xD1FE0012, 0x02060102
.long 0xD1000012, 0x0162252A
.long 0xE0501000, 0x80041612
.long 0x925402FF, 0x00000080
.long 0xD1350014, 0x0000A900
.long 0x24282882
.long 0xD1000014, 0x0162292A
.long 0x242A0082
.long 0xD1FE0012, 0x020A0103
.long 0xD1000012, 0x0162252A
.long 0xD1FE0013, 0x02060103
.long 0xD1000013, 0x0162272A
.long 0xD1196A01, 0x00010301
.long 0xD1340002, 0x00005502
.long 0xD1340003, 0x00005103
.long 0xD0C90054, 0x00003900
.long 0xD0C90058, 0x00003B01
.long 0x86D85854
.long 0xD1FE001A, 0x02060102
.long 0xD100001A, 0x0162352A
.long 0xE0501000, 0x80041E1A
.long 0x925402FF, 0x00000080
.long 0xD135001C, 0x0000A900
.long 0x24383882
.long 0xD100001C, 0x0162392A
.long 0x243A0082
.long 0xD1FE001A, 0x020A0103
.long 0xD100001A, 0x0162352A
.long 0xD1FE001B, 0x02060103
.long 0xD100001B, 0x0162372A
.long 0xD1196A01, 0x00010301
.long 0xD1340002, 0x00005502
.long 0xD1340003, 0x00005103
.long 0xD0C90054, 0x00003900
.long 0xD0C90058, 0x00003B01
	;; [unrolled: 18-line block ×3, first 2 shown]
.long 0xD3D84021, 0x18000106
.long 0xD3D84028, 0x18000103
	;; [unrolled: 1-line block ×3, first 2 shown]
.long 0xBF800001
.long 0xE074D000, 0x80031006
.long 0xE074D000, 0x80031812
	;; [unrolled: 1-line block ×4, first 2 shown]
.long 0xBF800000
.long 0x92421415
	;; [unrolled: 1-line block ×16, first 2 shown]
.long 0xC2330CCC, 0x00000000
.long 0x965F811C
.long 0x925E811C
	;; [unrolled: 1-line block ×15, first 2 shown]
.long 0x7E5402FF, 0x80000000
.long 0xBEE00016
.long 0xBEE10017
	;; [unrolled: 1-line block ×7, first 2 shown]
.long 0xE054D000, 0x80181006
.long 0xBE850032
.long 0x81858105
	;; [unrolled: 1-line block ×6, first 2 shown]
.long 0xE054D000, 0x80188006
.long 0x81858105
.long 0x80605A60
.long 0x82615B61
.long 0xBF008005
.long 0xBF850276
.long 0xE054D000, 0x80188806
.long 0x81858105
.long 0x80605A60
.long 0x82615B61
.long 0xBF008005
.long 0xBF850268
.long 0xE054D000, 0x80189006
.long 0x81858105
.long 0x80605A60
.long 0x82615B61
.long 0xBF008005
.long 0xBF850257
.long 0xE054D000, 0x80189806
.long 0x81858105
.long 0x80605A60
.long 0x82615B61
.long 0xBF008005
.long 0xBF850243
.long 0xE054D000, 0x8018A006
.long 0x81858105
.long 0x80605A60
.long 0x82615B61
.long 0xBF008005
.long 0xBF85022C
.long 0xE054D000, 0x8018A806
.long 0x81858105
.long 0x80605A60
.long 0x82615B61
.long 0xBF008005
.long 0xBF850212
.long 0xE054D000, 0x8018B006
.long 0x81858105
.long 0x80605A60
.long 0x82615B61
.long 0xBF008005
.long 0xBF8501F5
.long 0xE054D000, 0x8018B806
.long 0x81858105
.long 0x80605A60
.long 0x82615B61
.long 0xBF008005
.long 0xBF8501D5
.long 0xE054D000, 0x8018C006
.long 0x81858105
.long 0x80605A60
.long 0x82615B61
.long 0xBF008005
.long 0xBF8501B2
.long 0xE054D000, 0x8018C806
.long 0x81858105
.long 0x80605A60
.long 0x82615B61
.long 0xBF008005
.long 0xBF85018C
.long 0xE054D000, 0x8018D006
.long 0x81858105
.long 0x80605A60
.long 0x82615B61
.long 0xBF008005
.long 0xBF850163
.long 0xE054D000, 0x8018D806
.long 0x81858105
.long 0x80605A60
.long 0x82615B61
.long 0xBF008005
.long 0xBF850137
.long 0xE054D000, 0x8018E006
.long 0x81858105
.long 0x80605A60
.long 0x82615B61
.long 0xBF008005
.long 0xBF850108
.long 0xE054D000, 0x8018E806
.long 0x81858105
.long 0x80605A60
.long 0x82615B61
.long 0xBF008005
.long 0xBF8500D6
.long 0xE054D000, 0x8018F006
.long 0xBF8C0F7E
.long 0xD3B24010, 0x18030110
.long 0x81858105
.long 0xBF05CE05
.long 0xBF850217
.long 0x80605A60
.long 0x82615B61
.long 0xD0C6005C, 0x00000A80
.long 0xD100002B, 0x01725506
.long 0xE054D000, 0x8018802B
.long 0xBF8C0F7E
.long 0xD3B24010, 0x18031110
.long 0x81858105
.long 0xBF05CE05
.long 0xBF850209
.long 0x80605A60
.long 0x82615B61
.long 0xD0C6005C, 0x00000A80
.long 0xD100002B, 0x01725506
	;; [unrolled: 10-line block ×15, first 2 shown]
.long 0xE054D000, 0x8018F02B
.long 0xBF02CE05
.long 0xBF85FF2C
.long 0xBF8C0F7D
.long 0xD3B24010, 0x18030110
.long 0xBF8C0F7C
.long 0xD3B24010, 0x18031110
.long 0xBF8C0F7B
.long 0xD3B24010, 0x18032110
.long 0xBF8C0F7A
.long 0xD3B24010, 0x18033110
.long 0xBF8C0F79
.long 0xD3B24010, 0x18034110
.long 0xBF8C0F78
.long 0xD3B24010, 0x18035110
.long 0xBF8C0F77
.long 0xD3B24010, 0x18036110
.long 0xBF8C0F76
.long 0xD3B24010, 0x18037110
.long 0xBF8C0F75
.long 0xD3B24010, 0x18038110
.long 0xBF8C0F74
.long 0xD3B24010, 0x18039110
.long 0xBF8C0F73
.long 0xD3B24010, 0x1803A110
.long 0xBF8C0F72
.long 0xD3B24010, 0x1803B110
.long 0xBF8C0F71
.long 0xD3B24010, 0x1803C110
.long 0xBF8C0F70
.long 0xD3B24010, 0x1803D110
.long 0xBF82011E
.long 0xBF8C0F7C
.long 0xD3B24010, 0x18030110
.long 0xBF8C0F7B
.long 0xD3B24010, 0x18031110
	;; [unrolled: 2-line block ×13, first 2 shown]
.long 0xBF8200F6
.long 0xBF8C0F7B
.long 0xD3B24010, 0x18030110
.long 0xBF8C0F7A
.long 0xD3B24010, 0x18031110
	;; [unrolled: 2-line block ×12, first 2 shown]
.long 0xBF8200D1
.long 0xBF8C0F7A
.long 0xD3B24010, 0x18030110
.long 0xBF8C0F79
.long 0xD3B24010, 0x18031110
	;; [unrolled: 2-line block ×11, first 2 shown]
.long 0xBF8200AF
.long 0xBF8C0F79
.long 0xD3B24010, 0x18030110
.long 0xBF8C0F78
.long 0xD3B24010, 0x18031110
	;; [unrolled: 2-line block ×10, first 2 shown]
.long 0xBF820090
.long 0xBF8C0F78
.long 0xD3B24010, 0x18030110
.long 0xBF8C0F77
.long 0xD3B24010, 0x18031110
	;; [unrolled: 2-line block ×9, first 2 shown]
.long 0xBF820074
.long 0xBF8C0F77
.long 0xD3B24010, 0x18030110
.long 0xBF8C0F76
.long 0xD3B24010, 0x18031110
	;; [unrolled: 2-line block ×8, first 2 shown]
.long 0xBF82005B
.long 0xBF8C0F76
.long 0xD3B24010, 0x18030110
.long 0xBF8C0F75
.long 0xD3B24010, 0x18031110
	;; [unrolled: 2-line block ×7, first 2 shown]
.long 0xBF820045
.long 0xBF8C0F75
.long 0xD3B24010, 0x18030110
.long 0xBF8C0F74
.long 0xD3B24010, 0x18031110
	;; [unrolled: 2-line block ×6, first 2 shown]
.long 0xBF820032
.long 0xBF8C0F74
.long 0xD3B24010, 0x18030110
.long 0xBF8C0F73
.long 0xD3B24010, 0x18031110
	;; [unrolled: 2-line block ×5, first 2 shown]
.long 0xBF820022
.long 0xBF8C0F73
.long 0xD3B24010, 0x18030110
.long 0xBF8C0F72
.long 0xD3B24010, 0x18031110
.long 0xBF8C0F71
.long 0xD3B24010, 0x18032110
.long 0xBF8C0F70
.long 0xD3B24010, 0x18033110
.long 0xBF820015
.long 0xBF8C0F72
.long 0xD3B24010, 0x18030110
.long 0xBF8C0F71
.long 0xD3B24010, 0x18031110
	;; [unrolled: 2-line block ×3, first 2 shown]
.long 0xBF82000B
.long 0xBF8C0F71
.long 0xD3B24010, 0x18030110
.long 0xBF8C0F70
.long 0xD3B24010, 0x18031110
.long 0xBF820004
.long 0xBF8C0F70
.long 0xD3B24010, 0x18030110
.long 0xBF820000
.long 0x7E5402FF, 0x80000000
.long 0xBEE00016
.long 0xBEE10017
	;; [unrolled: 1-line block ×4, first 2 shown]
.long 0xE054D000, 0x80181812
.long 0xBE850032
.long 0x81858105
	;; [unrolled: 1-line block ×6, first 2 shown]
.long 0xE054D000, 0x80188012
.long 0x81858105
.long 0x80605A60
.long 0x82615B61
.long 0xBF008005
.long 0xBF850276
.long 0xE054D000, 0x80188812
.long 0x81858105
.long 0x80605A60
.long 0x82615B61
.long 0xBF008005
.long 0xBF850268
	;; [unrolled: 6-line block ×14, first 2 shown]
.long 0xE054D000, 0x8018F012
.long 0xBF8C0F7E
.long 0xD3B24018, 0x18030118
.long 0x81858105
.long 0xBF05CE05
.long 0xBF850217
.long 0x80605A60
.long 0x82615B61
.long 0xD0C6005C, 0x00000A80
.long 0xD100002B, 0x01725512
.long 0xE054D000, 0x8018802B
.long 0xBF8C0F7E
.long 0xD3B24018, 0x18031118
.long 0x81858105
.long 0xBF05CE05
.long 0xBF850209
.long 0x80605A60
.long 0x82615B61
.long 0xD0C6005C, 0x00000A80
.long 0xD100002B, 0x01725512
	;; [unrolled: 10-line block ×15, first 2 shown]
.long 0xE054D000, 0x8018F02B
.long 0xBF02CE05
.long 0xBF85FF2C
	;; [unrolled: 1-line block ×3, first 2 shown]
.long 0xD3B24018, 0x18030118
.long 0xBF8C0F7C
.long 0xD3B24018, 0x18031118
.long 0xBF8C0F7B
	;; [unrolled: 2-line block ×14, first 2 shown]
.long 0xBF8C0F7C
.long 0xD3B24018, 0x18030118
.long 0xBF8C0F7B
.long 0xD3B24018, 0x18031118
	;; [unrolled: 2-line block ×13, first 2 shown]
.long 0xBF8200F6
.long 0xBF8C0F7B
.long 0xD3B24018, 0x18030118
.long 0xBF8C0F7A
.long 0xD3B24018, 0x18031118
	;; [unrolled: 2-line block ×12, first 2 shown]
.long 0xBF8200D1
.long 0xBF8C0F7A
.long 0xD3B24018, 0x18030118
.long 0xBF8C0F79
.long 0xD3B24018, 0x18031118
	;; [unrolled: 2-line block ×11, first 2 shown]
.long 0xBF8200AF
.long 0xBF8C0F79
.long 0xD3B24018, 0x18030118
.long 0xBF8C0F78
.long 0xD3B24018, 0x18031118
	;; [unrolled: 2-line block ×10, first 2 shown]
.long 0xBF820090
.long 0xBF8C0F78
.long 0xD3B24018, 0x18030118
.long 0xBF8C0F77
.long 0xD3B24018, 0x18031118
	;; [unrolled: 2-line block ×9, first 2 shown]
.long 0xBF820074
.long 0xBF8C0F77
.long 0xD3B24018, 0x18030118
.long 0xBF8C0F76
.long 0xD3B24018, 0x18031118
	;; [unrolled: 2-line block ×8, first 2 shown]
.long 0xBF82005B
.long 0xBF8C0F76
.long 0xD3B24018, 0x18030118
.long 0xBF8C0F75
.long 0xD3B24018, 0x18031118
.long 0xBF8C0F74
.long 0xD3B24018, 0x18032118
.long 0xBF8C0F73
.long 0xD3B24018, 0x18033118
.long 0xBF8C0F72
.long 0xD3B24018, 0x18034118
.long 0xBF8C0F71
.long 0xD3B24018, 0x18035118
.long 0xBF8C0F70
.long 0xD3B24018, 0x18036118
.long 0xBF820045
.long 0xBF8C0F75
.long 0xD3B24018, 0x18030118
.long 0xBF8C0F74
.long 0xD3B24018, 0x18031118
	;; [unrolled: 2-line block ×6, first 2 shown]
.long 0xBF820032
.long 0xBF8C0F74
.long 0xD3B24018, 0x18030118
.long 0xBF8C0F73
.long 0xD3B24018, 0x18031118
	;; [unrolled: 2-line block ×5, first 2 shown]
.long 0xBF820022
.long 0xBF8C0F73
.long 0xD3B24018, 0x18030118
.long 0xBF8C0F72
.long 0xD3B24018, 0x18031118
	;; [unrolled: 2-line block ×4, first 2 shown]
.long 0xBF820015
.long 0xBF8C0F72
.long 0xD3B24018, 0x18030118
.long 0xBF8C0F71
.long 0xD3B24018, 0x18031118
	;; [unrolled: 2-line block ×3, first 2 shown]
.long 0xBF82000B
.long 0xBF8C0F71
.long 0xD3B24018, 0x18030118
.long 0xBF8C0F70
.long 0xD3B24018, 0x18031118
.long 0xBF820004
.long 0xBF8C0F70
.long 0xD3B24018, 0x18030118
.long 0xBF820000
.long 0x7E5402FF, 0x80000000
.long 0xBEE00016
.long 0xBEE10017
	;; [unrolled: 1-line block ×4, first 2 shown]
.long 0xE054D000, 0x8018201A
.long 0xBE850032
.long 0x81858105
	;; [unrolled: 1-line block ×6, first 2 shown]
.long 0xE054D000, 0x8018801A
.long 0x81858105
.long 0x80605A60
.long 0x82615B61
.long 0xBF008005
.long 0xBF850276
.long 0xE054D000, 0x8018881A
.long 0x81858105
.long 0x80605A60
.long 0x82615B61
.long 0xBF008005
.long 0xBF850268
	;; [unrolled: 6-line block ×14, first 2 shown]
.long 0xE054D000, 0x8018F01A
.long 0xBF8C0F7E
.long 0xD3B24020, 0x18030120
.long 0x81858105
.long 0xBF05CE05
.long 0xBF850217
.long 0x80605A60
.long 0x82615B61
.long 0xD0C6005C, 0x00000A80
.long 0xD100002B, 0x0172551A
.long 0xE054D000, 0x8018802B
.long 0xBF8C0F7E
.long 0xD3B24020, 0x18031120
.long 0x81858105
.long 0xBF05CE05
.long 0xBF850209
.long 0x80605A60
.long 0x82615B61
.long 0xD0C6005C, 0x00000A80
.long 0xD100002B, 0x0172551A
	;; [unrolled: 10-line block ×15, first 2 shown]
.long 0xE054D000, 0x8018F02B
.long 0xBF02CE05
.long 0xBF85FF2C
	;; [unrolled: 1-line block ×3, first 2 shown]
.long 0xD3B24020, 0x18030120
.long 0xBF8C0F7C
.long 0xD3B24020, 0x18031120
.long 0xBF8C0F7B
	;; [unrolled: 2-line block ×14, first 2 shown]
.long 0xBF8C0F7C
.long 0xD3B24020, 0x18030120
.long 0xBF8C0F7B
.long 0xD3B24020, 0x18031120
.long 0xBF8C0F7A
.long 0xD3B24020, 0x18032120
.long 0xBF8C0F79
.long 0xD3B24020, 0x18033120
.long 0xBF8C0F78
.long 0xD3B24020, 0x18034120
.long 0xBF8C0F77
.long 0xD3B24020, 0x18035120
.long 0xBF8C0F76
.long 0xD3B24020, 0x18036120
.long 0xBF8C0F75
.long 0xD3B24020, 0x18037120
.long 0xBF8C0F74
.long 0xD3B24020, 0x18038120
.long 0xBF8C0F73
.long 0xD3B24020, 0x18039120
.long 0xBF8C0F72
.long 0xD3B24020, 0x1803A120
.long 0xBF8C0F71
.long 0xD3B24020, 0x1803B120
.long 0xBF8C0F70
.long 0xD3B24020, 0x1803C120
.long 0xBF8200F6
.long 0xBF8C0F7B
.long 0xD3B24020, 0x18030120
.long 0xBF8C0F7A
.long 0xD3B24020, 0x18031120
	;; [unrolled: 2-line block ×12, first 2 shown]
.long 0xBF8200D1
.long 0xBF8C0F7A
.long 0xD3B24020, 0x18030120
.long 0xBF8C0F79
.long 0xD3B24020, 0x18031120
	;; [unrolled: 2-line block ×11, first 2 shown]
.long 0xBF8200AF
.long 0xBF8C0F79
.long 0xD3B24020, 0x18030120
.long 0xBF8C0F78
.long 0xD3B24020, 0x18031120
.long 0xBF8C0F77
.long 0xD3B24020, 0x18032120
.long 0xBF8C0F76
.long 0xD3B24020, 0x18033120
.long 0xBF8C0F75
.long 0xD3B24020, 0x18034120
.long 0xBF8C0F74
.long 0xD3B24020, 0x18035120
.long 0xBF8C0F73
.long 0xD3B24020, 0x18036120
.long 0xBF8C0F72
.long 0xD3B24020, 0x18037120
.long 0xBF8C0F71
.long 0xD3B24020, 0x18038120
.long 0xBF8C0F70
.long 0xD3B24020, 0x18039120
.long 0xBF820090
.long 0xBF8C0F78
.long 0xD3B24020, 0x18030120
.long 0xBF8C0F77
.long 0xD3B24020, 0x18031120
	;; [unrolled: 2-line block ×9, first 2 shown]
.long 0xBF820074
.long 0xBF8C0F77
.long 0xD3B24020, 0x18030120
.long 0xBF8C0F76
.long 0xD3B24020, 0x18031120
	;; [unrolled: 2-line block ×8, first 2 shown]
.long 0xBF82005B
.long 0xBF8C0F76
.long 0xD3B24020, 0x18030120
.long 0xBF8C0F75
.long 0xD3B24020, 0x18031120
	;; [unrolled: 2-line block ×7, first 2 shown]
.long 0xBF820045
.long 0xBF8C0F75
.long 0xD3B24020, 0x18030120
.long 0xBF8C0F74
.long 0xD3B24020, 0x18031120
	;; [unrolled: 2-line block ×6, first 2 shown]
.long 0xBF820032
.long 0xBF8C0F74
.long 0xD3B24020, 0x18030120
.long 0xBF8C0F73
.long 0xD3B24020, 0x18031120
	;; [unrolled: 2-line block ×5, first 2 shown]
.long 0xBF820022
.long 0xBF8C0F73
.long 0xD3B24020, 0x18030120
.long 0xBF8C0F72
.long 0xD3B24020, 0x18031120
.long 0xBF8C0F71
.long 0xD3B24020, 0x18032120
.long 0xBF8C0F70
.long 0xD3B24020, 0x18033120
.long 0xBF820015
.long 0xBF8C0F72
.long 0xD3B24020, 0x18030120
.long 0xBF8C0F71
.long 0xD3B24020, 0x18031120
	;; [unrolled: 2-line block ×3, first 2 shown]
.long 0xBF82000B
.long 0xBF8C0F71
.long 0xD3B24020, 0x18030120
.long 0xBF8C0F70
.long 0xD3B24020, 0x18031120
.long 0xBF820004
.long 0xBF8C0F70
.long 0xD3B24020, 0x18030120
.long 0xBF820000
.long 0x7E5402FF, 0x80000000
.long 0xBEE00016
.long 0xBEE10017
	;; [unrolled: 1-line block ×4, first 2 shown]
.long 0xE054D000, 0x80182822
.long 0xBE850032
.long 0x81858105
	;; [unrolled: 1-line block ×6, first 2 shown]
.long 0xE054D000, 0x80188022
.long 0x81858105
.long 0x80605A60
.long 0x82615B61
.long 0xBF008005
.long 0xBF850276
.long 0xE054D000, 0x80188822
.long 0x81858105
.long 0x80605A60
.long 0x82615B61
.long 0xBF008005
.long 0xBF850268
.long 0xE054D000, 0x80189022
.long 0x81858105
.long 0x80605A60
.long 0x82615B61
.long 0xBF008005
.long 0xBF850257
.long 0xE054D000, 0x80189822
.long 0x81858105
.long 0x80605A60
.long 0x82615B61
.long 0xBF008005
.long 0xBF850243
.long 0xE054D000, 0x8018A022
.long 0x81858105
.long 0x80605A60
.long 0x82615B61
.long 0xBF008005
.long 0xBF85022C
.long 0xE054D000, 0x8018A822
.long 0x81858105
.long 0x80605A60
.long 0x82615B61
.long 0xBF008005
.long 0xBF850212
.long 0xE054D000, 0x8018B022
.long 0x81858105
.long 0x80605A60
.long 0x82615B61
.long 0xBF008005
.long 0xBF8501F5
.long 0xE054D000, 0x8018B822
.long 0x81858105
.long 0x80605A60
.long 0x82615B61
.long 0xBF008005
.long 0xBF8501D5
.long 0xE054D000, 0x8018C022
.long 0x81858105
.long 0x80605A60
.long 0x82615B61
.long 0xBF008005
.long 0xBF8501B2
.long 0xE054D000, 0x8018C822
.long 0x81858105
.long 0x80605A60
.long 0x82615B61
.long 0xBF008005
.long 0xBF85018C
.long 0xE054D000, 0x8018D022
.long 0x81858105
.long 0x80605A60
.long 0x82615B61
.long 0xBF008005
.long 0xBF850163
.long 0xE054D000, 0x8018D822
.long 0x81858105
.long 0x80605A60
.long 0x82615B61
.long 0xBF008005
.long 0xBF850137
.long 0xE054D000, 0x8018E022
.long 0x81858105
.long 0x80605A60
.long 0x82615B61
.long 0xBF008005
.long 0xBF850108
.long 0xE054D000, 0x8018E822
.long 0x81858105
.long 0x80605A60
.long 0x82615B61
.long 0xBF008005
.long 0xBF8500D6
.long 0xE054D000, 0x8018F022
.long 0xBF8C0F7E
.long 0xD3B24028, 0x18030128
.long 0x81858105
.long 0xBF05CE05
.long 0xBF850217
.long 0x80605A60
.long 0x82615B61
.long 0xD0C6005C, 0x00000A80
.long 0xD100002B, 0x01725522
.long 0xE054D000, 0x8018802B
.long 0xBF8C0F7E
.long 0xD3B24028, 0x18031128
.long 0x81858105
.long 0xBF05CE05
.long 0xBF850209
.long 0x80605A60
.long 0x82615B61
.long 0xD0C6005C, 0x00000A80
.long 0xD100002B, 0x01725522
	;; [unrolled: 10-line block ×15, first 2 shown]
.long 0xE054D000, 0x8018F02B
.long 0xBF02CE05
.long 0xBF85FF2C
	;; [unrolled: 1-line block ×3, first 2 shown]
.long 0xD3B24028, 0x18030128
.long 0xBF8C0F7C
.long 0xD3B24028, 0x18031128
.long 0xBF8C0F7B
	;; [unrolled: 2-line block ×14, first 2 shown]
.long 0xBF8C0F7C
.long 0xD3B24028, 0x18030128
.long 0xBF8C0F7B
.long 0xD3B24028, 0x18031128
	;; [unrolled: 2-line block ×13, first 2 shown]
.long 0xBF8200F6
.long 0xBF8C0F7B
.long 0xD3B24028, 0x18030128
.long 0xBF8C0F7A
.long 0xD3B24028, 0x18031128
.long 0xBF8C0F79
.long 0xD3B24028, 0x18032128
.long 0xBF8C0F78
.long 0xD3B24028, 0x18033128
.long 0xBF8C0F77
.long 0xD3B24028, 0x18034128
.long 0xBF8C0F76
.long 0xD3B24028, 0x18035128
.long 0xBF8C0F75
.long 0xD3B24028, 0x18036128
.long 0xBF8C0F74
.long 0xD3B24028, 0x18037128
.long 0xBF8C0F73
.long 0xD3B24028, 0x18038128
.long 0xBF8C0F72
.long 0xD3B24028, 0x18039128
.long 0xBF8C0F71
.long 0xD3B24028, 0x1803A128
.long 0xBF8C0F70
.long 0xD3B24028, 0x1803B128
.long 0xBF8200D1
.long 0xBF8C0F7A
.long 0xD3B24028, 0x18030128
.long 0xBF8C0F79
.long 0xD3B24028, 0x18031128
.long 0xBF8C0F78
.long 0xD3B24028, 0x18032128
.long 0xBF8C0F77
.long 0xD3B24028, 0x18033128
.long 0xBF8C0F76
.long 0xD3B24028, 0x18034128
.long 0xBF8C0F75
.long 0xD3B24028, 0x18035128
.long 0xBF8C0F74
.long 0xD3B24028, 0x18036128
.long 0xBF8C0F73
.long 0xD3B24028, 0x18037128
.long 0xBF8C0F72
.long 0xD3B24028, 0x18038128
.long 0xBF8C0F71
.long 0xD3B24028, 0x18039128
.long 0xBF8C0F70
.long 0xD3B24028, 0x1803A128
.long 0xBF8200AF
.long 0xBF8C0F79
.long 0xD3B24028, 0x18030128
.long 0xBF8C0F78
.long 0xD3B24028, 0x18031128
	;; [unrolled: 2-line block ×10, first 2 shown]
.long 0xBF820090
.long 0xBF8C0F78
.long 0xD3B24028, 0x18030128
.long 0xBF8C0F77
.long 0xD3B24028, 0x18031128
	;; [unrolled: 2-line block ×9, first 2 shown]
.long 0xBF820074
.long 0xBF8C0F77
.long 0xD3B24028, 0x18030128
.long 0xBF8C0F76
.long 0xD3B24028, 0x18031128
	;; [unrolled: 2-line block ×8, first 2 shown]
.long 0xBF82005B
.long 0xBF8C0F76
.long 0xD3B24028, 0x18030128
.long 0xBF8C0F75
.long 0xD3B24028, 0x18031128
	;; [unrolled: 2-line block ×7, first 2 shown]
.long 0xBF820045
.long 0xBF8C0F75
.long 0xD3B24028, 0x18030128
.long 0xBF8C0F74
.long 0xD3B24028, 0x18031128
.long 0xBF8C0F73
.long 0xD3B24028, 0x18032128
.long 0xBF8C0F72
.long 0xD3B24028, 0x18033128
.long 0xBF8C0F71
.long 0xD3B24028, 0x18034128
.long 0xBF8C0F70
.long 0xD3B24028, 0x18035128
.long 0xBF820032
.long 0xBF8C0F74
.long 0xD3B24028, 0x18030128
.long 0xBF8C0F73
.long 0xD3B24028, 0x18031128
	;; [unrolled: 2-line block ×5, first 2 shown]
.long 0xBF820022
.long 0xBF8C0F73
.long 0xD3B24028, 0x18030128
.long 0xBF8C0F72
.long 0xD3B24028, 0x18031128
	;; [unrolled: 2-line block ×4, first 2 shown]
.long 0xBF820015
.long 0xBF8C0F72
.long 0xD3B24028, 0x18030128
.long 0xBF8C0F71
.long 0xD3B24028, 0x18031128
	;; [unrolled: 2-line block ×3, first 2 shown]
.long 0xBF82000B
.long 0xBF8C0F71
.long 0xD3B24028, 0x18030128
.long 0xBF8C0F70
.long 0xD3B24028, 0x18031128
.long 0xBF820004
.long 0xBF8C0F70
.long 0xD3B24028, 0x18030128
.long 0xBF820000
.long 0x0A202030
	;; [unrolled: 1-line block ×10, first 2 shown]
.long 0xD0CC0038, 0x0001004A
.long 0xD100000E, 0x00E21CF2
.long 0xD100000F, 0x00E21EF2
.long 0xD3B14010, 0x1802210E
.long 0xD3A00010, 0x14421431
.long 0xD3A01011, 0x14461431
.long 0xD3B24010, 0x1802210C
.long 0x0A20203E
.long 0x0A2020FF, 0x4038AA3B
.long 0x7E204110
.long 0xBF800000
.long 0x022020F2
.long 0x7E204510
.long 0xBF800000
.long 0xD1CB0010, 0x03CA20F5
.long 0x0A20203F
.long 0x0A22223E
.long 0x0A2222FF, 0x4038AA3B
.long 0x7E224111
.long 0xBF800000
.long 0x022222F2
.long 0x7E224511
.long 0xBF800000
.long 0xD1CB0011, 0x03CA22F5
.long 0x0A22223F
.long 0x7E201510
.long 0x7E221511
.long 0xD2A00010, 0x00022310
.long 0xE070D000, 0x80141007
.long 0xBF800000
.long 0xD0CC0038, 0x0001004A
.long 0xD100000E, 0x00E21CF2
.long 0xD100000F, 0x00E21EF2
.long 0xD3B14018, 0x1802310E
.long 0xD3A00018, 0x14622C31
.long 0xD3A01019, 0x14662C31
.long 0xD3B24018, 0x1802310C
.long 0x0A30303E
.long 0x0A3030FF, 0x4038AA3B
.long 0x7E304118
.long 0xBF800000
.long 0x023030F2
.long 0x7E304518
.long 0xBF800000
.long 0xD1CB0018, 0x03CA30F5
.long 0x0A30303F
.long 0x0A32323E
.long 0x0A3232FF, 0x4038AA3B
.long 0x7E324119
.long 0xBF800000
.long 0x023232F2
.long 0x7E324519
.long 0xBF800000
.long 0xD1CB0019, 0x03CA32F5
.long 0x0A32323F
.long 0x7E301518
.long 0x7E321519
.long 0xD2A00018, 0x00023318
.long 0xE070D000, 0x80141813
.long 0xBF800000
	;; [unrolled: 30-line block ×4, first 2 shown]
.long 0xBF800000
.long 0xBF820BE5
.long 0x7E5402FF, 0x80000000
.long 0xD0C90054, 0x00003900
	;; [unrolled: 1-line block ×3, first 2 shown]
.long 0x86D85854
.long 0xD1FE0006, 0x02060102
.long 0xD1000006, 0x01620D2A
	;; [unrolled: 1-line block ×5, first 2 shown]
.long 0x24101082
.long 0xD1000008, 0x0162112A
.long 0xBF8CC07F
.long 0xBF8A0000
.long 0xD8EC0000, 0x0C000008
.long 0x24120082
.long 0xE0541000, 0x80120E09
.long 0xD1FE0006, 0x020A0103
	;; [unrolled: 1-line block ×10, first 2 shown]
.long 0x86D85854
.long 0xD1FE0012, 0x02060102
.long 0xD1000012, 0x0162252A
.long 0xE0501000, 0x80041612
.long 0x925402FF, 0x00000080
.long 0xD1350014, 0x0000A900
.long 0x24282882
.long 0xD1000014, 0x0162292A
.long 0x242A0082
.long 0xD1FE0012, 0x020A0103
.long 0xD1000012, 0x0162252A
.long 0xD1FE0013, 0x02060103
.long 0xD1000013, 0x0162272A
.long 0xD1196A01, 0x00010301
.long 0xD1340002, 0x00005502
.long 0xD1340003, 0x00005103
.long 0xD0C90054, 0x00003900
.long 0xD0C90058, 0x00003B01
.long 0x86D85854
.long 0xD1FE001A, 0x02060102
.long 0xD100001A, 0x0162352A
.long 0xE0501000, 0x80041E1A
.long 0x925402FF, 0x00000080
.long 0xD135001C, 0x0000A900
.long 0x24383882
.long 0xD100001C, 0x0162392A
.long 0x243A0082
.long 0xD1FE001A, 0x020A0103
.long 0xD100001A, 0x0162352A
.long 0xD1FE001B, 0x02060103
.long 0xD100001B, 0x0162372A
.long 0xD1196A01, 0x00010301
.long 0xD1340002, 0x00005502
.long 0xD1340003, 0x00005103
.long 0xD0C90054, 0x00003900
.long 0xD0C90058, 0x00003B01
	;; [unrolled: 18-line block ×3, first 2 shown]
.long 0xD3D84021, 0x18000106
.long 0xD3D84028, 0x18000103
	;; [unrolled: 1-line block ×3, first 2 shown]
.long 0xBF800001
.long 0xE074D000, 0x80031006
.long 0xE074D000, 0x80031812
.long 0xE074D000, 0x8003201A
.long 0xE074D000, 0x80032822
.long 0xBF800000
.long 0x92421415
	;; [unrolled: 1-line block ×16, first 2 shown]
.long 0xC2330CCC, 0x00000000
.long 0x965F811C
.long 0x925E811C
	;; [unrolled: 1-line block ×15, first 2 shown]
.long 0x7E5402FF, 0x80000000
.long 0xBEE00016
.long 0xBEE10017
	;; [unrolled: 1-line block ×7, first 2 shown]
.long 0xE054D000, 0x80181006
.long 0xBE850032
.long 0x81858105
	;; [unrolled: 1-line block ×6, first 2 shown]
.long 0xE054D000, 0x80188006
.long 0x81858105
.long 0x80605A60
.long 0x82615B61
.long 0xBF008005
.long 0xBF850276
.long 0xE054D000, 0x80188806
.long 0x81858105
.long 0x80605A60
.long 0x82615B61
.long 0xBF008005
.long 0xBF850268
	;; [unrolled: 6-line block ×14, first 2 shown]
.long 0xE054D000, 0x8018F006
.long 0xBF8C0F7E
.long 0xD3B24010, 0x18030110
.long 0x81858105
.long 0xBF05CE05
.long 0xBF850217
.long 0x80605A60
.long 0x82615B61
.long 0xD0C6005C, 0x00000A80
.long 0xD100002B, 0x01725506
.long 0xE054D000, 0x8018802B
.long 0xBF8C0F7E
.long 0xD3B24010, 0x18031110
.long 0x81858105
.long 0xBF05CE05
.long 0xBF850209
.long 0x80605A60
.long 0x82615B61
.long 0xD0C6005C, 0x00000A80
.long 0xD100002B, 0x01725506
	;; [unrolled: 10-line block ×15, first 2 shown]
.long 0xE054D000, 0x8018F02B
.long 0xBF02CE05
.long 0xBF85FF2C
.long 0xBF8C0F7D
.long 0xD3B24010, 0x18030110
.long 0xBF8C0F7C
.long 0xD3B24010, 0x18031110
.long 0xBF8C0F7B
	;; [unrolled: 2-line block ×14, first 2 shown]
.long 0xBF8C0F7C
.long 0xD3B24010, 0x18030110
.long 0xBF8C0F7B
.long 0xD3B24010, 0x18031110
	;; [unrolled: 2-line block ×13, first 2 shown]
.long 0xBF8200F6
.long 0xBF8C0F7B
.long 0xD3B24010, 0x18030110
.long 0xBF8C0F7A
.long 0xD3B24010, 0x18031110
	;; [unrolled: 2-line block ×12, first 2 shown]
.long 0xBF8200D1
.long 0xBF8C0F7A
.long 0xD3B24010, 0x18030110
.long 0xBF8C0F79
.long 0xD3B24010, 0x18031110
	;; [unrolled: 2-line block ×11, first 2 shown]
.long 0xBF8200AF
.long 0xBF8C0F79
.long 0xD3B24010, 0x18030110
.long 0xBF8C0F78
.long 0xD3B24010, 0x18031110
	;; [unrolled: 2-line block ×10, first 2 shown]
.long 0xBF820090
.long 0xBF8C0F78
.long 0xD3B24010, 0x18030110
.long 0xBF8C0F77
.long 0xD3B24010, 0x18031110
	;; [unrolled: 2-line block ×9, first 2 shown]
.long 0xBF820074
.long 0xBF8C0F77
.long 0xD3B24010, 0x18030110
.long 0xBF8C0F76
.long 0xD3B24010, 0x18031110
	;; [unrolled: 2-line block ×8, first 2 shown]
.long 0xBF82005B
.long 0xBF8C0F76
.long 0xD3B24010, 0x18030110
.long 0xBF8C0F75
.long 0xD3B24010, 0x18031110
	;; [unrolled: 2-line block ×7, first 2 shown]
.long 0xBF820045
.long 0xBF8C0F75
.long 0xD3B24010, 0x18030110
.long 0xBF8C0F74
.long 0xD3B24010, 0x18031110
	;; [unrolled: 2-line block ×6, first 2 shown]
.long 0xBF820032
.long 0xBF8C0F74
.long 0xD3B24010, 0x18030110
.long 0xBF8C0F73
.long 0xD3B24010, 0x18031110
.long 0xBF8C0F72
.long 0xD3B24010, 0x18032110
.long 0xBF8C0F71
.long 0xD3B24010, 0x18033110
.long 0xBF8C0F70
.long 0xD3B24010, 0x18034110
.long 0xBF820022
.long 0xBF8C0F73
.long 0xD3B24010, 0x18030110
.long 0xBF8C0F72
.long 0xD3B24010, 0x18031110
	;; [unrolled: 2-line block ×4, first 2 shown]
.long 0xBF820015
.long 0xBF8C0F72
.long 0xD3B24010, 0x18030110
.long 0xBF8C0F71
.long 0xD3B24010, 0x18031110
	;; [unrolled: 2-line block ×3, first 2 shown]
.long 0xBF82000B
.long 0xBF8C0F71
.long 0xD3B24010, 0x18030110
.long 0xBF8C0F70
.long 0xD3B24010, 0x18031110
.long 0xBF820004
.long 0xBF8C0F70
.long 0xD3B24010, 0x18030110
.long 0xBF820000
.long 0x7E5402FF, 0x80000000
.long 0xBEE00016
.long 0xBEE10017
	;; [unrolled: 1-line block ×4, first 2 shown]
.long 0xE054D000, 0x80181812
.long 0xBE850032
.long 0x81858105
	;; [unrolled: 1-line block ×6, first 2 shown]
.long 0xE054D000, 0x80188012
.long 0x81858105
.long 0x80605A60
.long 0x82615B61
.long 0xBF008005
.long 0xBF850276
.long 0xE054D000, 0x80188812
.long 0x81858105
.long 0x80605A60
.long 0x82615B61
.long 0xBF008005
.long 0xBF850268
.long 0xE054D000, 0x80189012
.long 0x81858105
.long 0x80605A60
.long 0x82615B61
.long 0xBF008005
.long 0xBF850257
.long 0xE054D000, 0x80189812
.long 0x81858105
.long 0x80605A60
.long 0x82615B61
.long 0xBF008005
.long 0xBF850243
.long 0xE054D000, 0x8018A012
.long 0x81858105
.long 0x80605A60
.long 0x82615B61
.long 0xBF008005
.long 0xBF85022C
.long 0xE054D000, 0x8018A812
.long 0x81858105
.long 0x80605A60
.long 0x82615B61
.long 0xBF008005
.long 0xBF850212
.long 0xE054D000, 0x8018B012
.long 0x81858105
.long 0x80605A60
.long 0x82615B61
.long 0xBF008005
.long 0xBF8501F5
.long 0xE054D000, 0x8018B812
.long 0x81858105
.long 0x80605A60
.long 0x82615B61
.long 0xBF008005
.long 0xBF8501D5
.long 0xE054D000, 0x8018C012
.long 0x81858105
.long 0x80605A60
.long 0x82615B61
.long 0xBF008005
.long 0xBF8501B2
.long 0xE054D000, 0x8018C812
.long 0x81858105
.long 0x80605A60
.long 0x82615B61
.long 0xBF008005
.long 0xBF85018C
.long 0xE054D000, 0x8018D012
.long 0x81858105
.long 0x80605A60
.long 0x82615B61
.long 0xBF008005
.long 0xBF850163
.long 0xE054D000, 0x8018D812
.long 0x81858105
.long 0x80605A60
.long 0x82615B61
.long 0xBF008005
.long 0xBF850137
.long 0xE054D000, 0x8018E012
.long 0x81858105
.long 0x80605A60
.long 0x82615B61
.long 0xBF008005
.long 0xBF850108
.long 0xE054D000, 0x8018E812
.long 0x81858105
.long 0x80605A60
.long 0x82615B61
.long 0xBF008005
.long 0xBF8500D6
.long 0xE054D000, 0x8018F012
.long 0xBF8C0F7E
.long 0xD3B24018, 0x18030118
.long 0x81858105
.long 0xBF05CE05
.long 0xBF850217
.long 0x80605A60
.long 0x82615B61
.long 0xD0C6005C, 0x00000A80
.long 0xD100002B, 0x01725512
.long 0xE054D000, 0x8018802B
.long 0xBF8C0F7E
.long 0xD3B24018, 0x18031118
.long 0x81858105
.long 0xBF05CE05
.long 0xBF850209
.long 0x80605A60
.long 0x82615B61
.long 0xD0C6005C, 0x00000A80
.long 0xD100002B, 0x01725512
	;; [unrolled: 10-line block ×15, first 2 shown]
.long 0xE054D000, 0x8018F02B
.long 0xBF02CE05
.long 0xBF85FF2C
	;; [unrolled: 1-line block ×3, first 2 shown]
.long 0xD3B24018, 0x18030118
.long 0xBF8C0F7C
.long 0xD3B24018, 0x18031118
.long 0xBF8C0F7B
	;; [unrolled: 2-line block ×14, first 2 shown]
.long 0xBF8C0F7C
.long 0xD3B24018, 0x18030118
.long 0xBF8C0F7B
.long 0xD3B24018, 0x18031118
	;; [unrolled: 2-line block ×13, first 2 shown]
.long 0xBF8200F6
.long 0xBF8C0F7B
.long 0xD3B24018, 0x18030118
.long 0xBF8C0F7A
.long 0xD3B24018, 0x18031118
	;; [unrolled: 2-line block ×12, first 2 shown]
.long 0xBF8200D1
.long 0xBF8C0F7A
.long 0xD3B24018, 0x18030118
.long 0xBF8C0F79
.long 0xD3B24018, 0x18031118
	;; [unrolled: 2-line block ×11, first 2 shown]
.long 0xBF8200AF
.long 0xBF8C0F79
.long 0xD3B24018, 0x18030118
.long 0xBF8C0F78
.long 0xD3B24018, 0x18031118
	;; [unrolled: 2-line block ×10, first 2 shown]
.long 0xBF820090
.long 0xBF8C0F78
.long 0xD3B24018, 0x18030118
.long 0xBF8C0F77
.long 0xD3B24018, 0x18031118
	;; [unrolled: 2-line block ×9, first 2 shown]
.long 0xBF820074
.long 0xBF8C0F77
.long 0xD3B24018, 0x18030118
.long 0xBF8C0F76
.long 0xD3B24018, 0x18031118
	;; [unrolled: 2-line block ×8, first 2 shown]
.long 0xBF82005B
.long 0xBF8C0F76
.long 0xD3B24018, 0x18030118
.long 0xBF8C0F75
.long 0xD3B24018, 0x18031118
	;; [unrolled: 2-line block ×7, first 2 shown]
.long 0xBF820045
.long 0xBF8C0F75
.long 0xD3B24018, 0x18030118
.long 0xBF8C0F74
.long 0xD3B24018, 0x18031118
	;; [unrolled: 2-line block ×6, first 2 shown]
.long 0xBF820032
.long 0xBF8C0F74
.long 0xD3B24018, 0x18030118
.long 0xBF8C0F73
.long 0xD3B24018, 0x18031118
	;; [unrolled: 2-line block ×5, first 2 shown]
.long 0xBF820022
.long 0xBF8C0F73
.long 0xD3B24018, 0x18030118
.long 0xBF8C0F72
.long 0xD3B24018, 0x18031118
	;; [unrolled: 2-line block ×4, first 2 shown]
.long 0xBF820015
.long 0xBF8C0F72
.long 0xD3B24018, 0x18030118
.long 0xBF8C0F71
.long 0xD3B24018, 0x18031118
	;; [unrolled: 2-line block ×3, first 2 shown]
.long 0xBF82000B
.long 0xBF8C0F71
.long 0xD3B24018, 0x18030118
.long 0xBF8C0F70
.long 0xD3B24018, 0x18031118
.long 0xBF820004
.long 0xBF8C0F70
.long 0xD3B24018, 0x18030118
.long 0xBF820000
.long 0x7E5402FF, 0x80000000
.long 0xBEE00016
.long 0xBEE10017
	;; [unrolled: 1-line block ×4, first 2 shown]
.long 0xE054D000, 0x8018201A
.long 0xBE850032
.long 0x81858105
	;; [unrolled: 1-line block ×6, first 2 shown]
.long 0xE054D000, 0x8018801A
.long 0x81858105
.long 0x80605A60
.long 0x82615B61
.long 0xBF008005
.long 0xBF850276
.long 0xE054D000, 0x8018881A
.long 0x81858105
.long 0x80605A60
.long 0x82615B61
.long 0xBF008005
.long 0xBF850268
	;; [unrolled: 6-line block ×14, first 2 shown]
.long 0xE054D000, 0x8018F01A
.long 0xBF8C0F7E
.long 0xD3B24020, 0x18030120
.long 0x81858105
.long 0xBF05CE05
.long 0xBF850217
.long 0x80605A60
.long 0x82615B61
.long 0xD0C6005C, 0x00000A80
.long 0xD100002B, 0x0172551A
.long 0xE054D000, 0x8018802B
.long 0xBF8C0F7E
.long 0xD3B24020, 0x18031120
.long 0x81858105
.long 0xBF05CE05
.long 0xBF850209
.long 0x80605A60
.long 0x82615B61
.long 0xD0C6005C, 0x00000A80
.long 0xD100002B, 0x0172551A
	;; [unrolled: 10-line block ×15, first 2 shown]
.long 0xE054D000, 0x8018F02B
.long 0xBF02CE05
.long 0xBF85FF2C
	;; [unrolled: 1-line block ×3, first 2 shown]
.long 0xD3B24020, 0x18030120
.long 0xBF8C0F7C
.long 0xD3B24020, 0x18031120
.long 0xBF8C0F7B
	;; [unrolled: 2-line block ×14, first 2 shown]
.long 0xBF8C0F7C
.long 0xD3B24020, 0x18030120
.long 0xBF8C0F7B
.long 0xD3B24020, 0x18031120
.long 0xBF8C0F7A
.long 0xD3B24020, 0x18032120
.long 0xBF8C0F79
.long 0xD3B24020, 0x18033120
.long 0xBF8C0F78
.long 0xD3B24020, 0x18034120
.long 0xBF8C0F77
.long 0xD3B24020, 0x18035120
.long 0xBF8C0F76
.long 0xD3B24020, 0x18036120
.long 0xBF8C0F75
.long 0xD3B24020, 0x18037120
.long 0xBF8C0F74
.long 0xD3B24020, 0x18038120
.long 0xBF8C0F73
.long 0xD3B24020, 0x18039120
.long 0xBF8C0F72
.long 0xD3B24020, 0x1803A120
.long 0xBF8C0F71
.long 0xD3B24020, 0x1803B120
.long 0xBF8C0F70
.long 0xD3B24020, 0x1803C120
.long 0xBF8200F6
.long 0xBF8C0F7B
.long 0xD3B24020, 0x18030120
.long 0xBF8C0F7A
.long 0xD3B24020, 0x18031120
	;; [unrolled: 2-line block ×12, first 2 shown]
.long 0xBF8200D1
.long 0xBF8C0F7A
.long 0xD3B24020, 0x18030120
.long 0xBF8C0F79
.long 0xD3B24020, 0x18031120
	;; [unrolled: 2-line block ×11, first 2 shown]
.long 0xBF8200AF
.long 0xBF8C0F79
.long 0xD3B24020, 0x18030120
.long 0xBF8C0F78
.long 0xD3B24020, 0x18031120
	;; [unrolled: 2-line block ×10, first 2 shown]
.long 0xBF820090
.long 0xBF8C0F78
.long 0xD3B24020, 0x18030120
.long 0xBF8C0F77
.long 0xD3B24020, 0x18031120
.long 0xBF8C0F76
.long 0xD3B24020, 0x18032120
.long 0xBF8C0F75
.long 0xD3B24020, 0x18033120
.long 0xBF8C0F74
.long 0xD3B24020, 0x18034120
.long 0xBF8C0F73
.long 0xD3B24020, 0x18035120
.long 0xBF8C0F72
.long 0xD3B24020, 0x18036120
.long 0xBF8C0F71
.long 0xD3B24020, 0x18037120
.long 0xBF8C0F70
.long 0xD3B24020, 0x18038120
.long 0xBF820074
.long 0xBF8C0F77
.long 0xD3B24020, 0x18030120
.long 0xBF8C0F76
.long 0xD3B24020, 0x18031120
	;; [unrolled: 2-line block ×8, first 2 shown]
.long 0xBF82005B
.long 0xBF8C0F76
.long 0xD3B24020, 0x18030120
.long 0xBF8C0F75
.long 0xD3B24020, 0x18031120
	;; [unrolled: 2-line block ×7, first 2 shown]
.long 0xBF820045
.long 0xBF8C0F75
.long 0xD3B24020, 0x18030120
.long 0xBF8C0F74
.long 0xD3B24020, 0x18031120
	;; [unrolled: 2-line block ×6, first 2 shown]
.long 0xBF820032
.long 0xBF8C0F74
.long 0xD3B24020, 0x18030120
.long 0xBF8C0F73
.long 0xD3B24020, 0x18031120
	;; [unrolled: 2-line block ×5, first 2 shown]
.long 0xBF820022
.long 0xBF8C0F73
.long 0xD3B24020, 0x18030120
.long 0xBF8C0F72
.long 0xD3B24020, 0x18031120
	;; [unrolled: 2-line block ×4, first 2 shown]
.long 0xBF820015
.long 0xBF8C0F72
.long 0xD3B24020, 0x18030120
.long 0xBF8C0F71
.long 0xD3B24020, 0x18031120
	;; [unrolled: 2-line block ×3, first 2 shown]
.long 0xBF82000B
.long 0xBF8C0F71
.long 0xD3B24020, 0x18030120
.long 0xBF8C0F70
.long 0xD3B24020, 0x18031120
.long 0xBF820004
.long 0xBF8C0F70
.long 0xD3B24020, 0x18030120
.long 0xBF820000
.long 0x7E5402FF, 0x80000000
.long 0xBEE00016
.long 0xBEE10017
	;; [unrolled: 1-line block ×4, first 2 shown]
.long 0xE054D000, 0x80182822
.long 0xBE850032
.long 0x81858105
	;; [unrolled: 1-line block ×6, first 2 shown]
.long 0xE054D000, 0x80188022
.long 0x81858105
.long 0x80605A60
.long 0x82615B61
.long 0xBF008005
.long 0xBF850276
.long 0xE054D000, 0x80188822
.long 0x81858105
.long 0x80605A60
.long 0x82615B61
.long 0xBF008005
.long 0xBF850268
	;; [unrolled: 6-line block ×14, first 2 shown]
.long 0xE054D000, 0x8018F022
.long 0xBF8C0F7E
.long 0xD3B24028, 0x18030128
.long 0x81858105
.long 0xBF05CE05
.long 0xBF850217
.long 0x80605A60
.long 0x82615B61
.long 0xD0C6005C, 0x00000A80
.long 0xD100002B, 0x01725522
.long 0xE054D000, 0x8018802B
.long 0xBF8C0F7E
.long 0xD3B24028, 0x18031128
.long 0x81858105
.long 0xBF05CE05
.long 0xBF850209
.long 0x80605A60
.long 0x82615B61
.long 0xD0C6005C, 0x00000A80
.long 0xD100002B, 0x01725522
	;; [unrolled: 10-line block ×15, first 2 shown]
.long 0xE054D000, 0x8018F02B
.long 0xBF02CE05
.long 0xBF85FF2C
	;; [unrolled: 1-line block ×3, first 2 shown]
.long 0xD3B24028, 0x18030128
.long 0xBF8C0F7C
.long 0xD3B24028, 0x18031128
.long 0xBF8C0F7B
	;; [unrolled: 2-line block ×14, first 2 shown]
.long 0xBF8C0F7C
.long 0xD3B24028, 0x18030128
.long 0xBF8C0F7B
.long 0xD3B24028, 0x18031128
	;; [unrolled: 2-line block ×13, first 2 shown]
.long 0xBF8200F6
.long 0xBF8C0F7B
.long 0xD3B24028, 0x18030128
.long 0xBF8C0F7A
.long 0xD3B24028, 0x18031128
	;; [unrolled: 2-line block ×12, first 2 shown]
.long 0xBF8200D1
.long 0xBF8C0F7A
.long 0xD3B24028, 0x18030128
.long 0xBF8C0F79
.long 0xD3B24028, 0x18031128
	;; [unrolled: 2-line block ×11, first 2 shown]
.long 0xBF8200AF
.long 0xBF8C0F79
.long 0xD3B24028, 0x18030128
.long 0xBF8C0F78
.long 0xD3B24028, 0x18031128
	;; [unrolled: 2-line block ×10, first 2 shown]
.long 0xBF820090
.long 0xBF8C0F78
.long 0xD3B24028, 0x18030128
.long 0xBF8C0F77
.long 0xD3B24028, 0x18031128
	;; [unrolled: 2-line block ×9, first 2 shown]
.long 0xBF820074
.long 0xBF8C0F77
.long 0xD3B24028, 0x18030128
.long 0xBF8C0F76
.long 0xD3B24028, 0x18031128
	;; [unrolled: 2-line block ×8, first 2 shown]
.long 0xBF82005B
.long 0xBF8C0F76
.long 0xD3B24028, 0x18030128
.long 0xBF8C0F75
.long 0xD3B24028, 0x18031128
	;; [unrolled: 2-line block ×7, first 2 shown]
.long 0xBF820045
.long 0xBF8C0F75
.long 0xD3B24028, 0x18030128
.long 0xBF8C0F74
.long 0xD3B24028, 0x18031128
.long 0xBF8C0F73
.long 0xD3B24028, 0x18032128
.long 0xBF8C0F72
.long 0xD3B24028, 0x18033128
.long 0xBF8C0F71
.long 0xD3B24028, 0x18034128
.long 0xBF8C0F70
.long 0xD3B24028, 0x18035128
.long 0xBF820032
.long 0xBF8C0F74
.long 0xD3B24028, 0x18030128
.long 0xBF8C0F73
.long 0xD3B24028, 0x18031128
	;; [unrolled: 2-line block ×5, first 2 shown]
.long 0xBF820022
.long 0xBF8C0F73
.long 0xD3B24028, 0x18030128
.long 0xBF8C0F72
.long 0xD3B24028, 0x18031128
	;; [unrolled: 2-line block ×4, first 2 shown]
.long 0xBF820015
.long 0xBF8C0F72
.long 0xD3B24028, 0x18030128
.long 0xBF8C0F71
.long 0xD3B24028, 0x18031128
	;; [unrolled: 2-line block ×3, first 2 shown]
.long 0xBF82000B
.long 0xBF8C0F71
.long 0xD3B24028, 0x18030128
.long 0xBF8C0F70
.long 0xD3B24028, 0x18031128
.long 0xBF820004
.long 0xBF8C0F70
.long 0xD3B24028, 0x18030128
.long 0xBF820000
.long 0x0A202030
	;; [unrolled: 1-line block ×10, first 2 shown]
.long 0xD0CC0038, 0x0001004A
.long 0xD100000E, 0x00E21CF2
.long 0xD100000F, 0x00E21EF2
.long 0xD3B14010, 0x1802210E
.long 0xD3A00010, 0x14421431
.long 0xD3A01011, 0x14461431
.long 0xD3B24010, 0x1802210C
.long 0x0A0820FF, 0x3D372713
.long 0xD1CB0004, 0x03CA0910
.long 0x0A080910
.long 0x0A0808FF, 0x40135761
.long 0x7E084104
.long 0xBF800000
.long 0x020808F2
.long 0x7E084504
.long 0xBF800000
.long 0xD1CB0004, 0x03D208F5
.long 0x0A080910
.long 0x0A0808F0
.long 0x0A20083E
.long 0x0A0822FF, 0x3D372713
.long 0xD1CB0004, 0x03CA0911
.long 0x0A080911
.long 0x0A0808FF, 0x40135761
.long 0x7E084104
.long 0xBF800000
.long 0x020808F2
.long 0x7E084504
.long 0xBF800000
.long 0xD1CB0004, 0x03D208F5
.long 0x0A080911
.long 0x0A0808F0
.long 0x0A22083E
.long 0x7E201510
.long 0x7E221511
.long 0xD2A00010, 0x00022310
.long 0xE070D000, 0x80141007
.long 0xBF800000
.long 0xD0CC0038, 0x0001004A
.long 0xD100000E, 0x00E21CF2
.long 0xD100000F, 0x00E21EF2
.long 0xD3B14018, 0x1802310E
.long 0xD3A00018, 0x14622C31
.long 0xD3A01019, 0x14662C31
.long 0xD3B24018, 0x1802310C
.long 0x0A0830FF, 0x3D372713
.long 0xD1CB0004, 0x03CA0918
.long 0x0A080918
.long 0x0A0808FF, 0x40135761
.long 0x7E084104
.long 0xBF800000
.long 0x020808F2
.long 0x7E084504
.long 0xBF800000
.long 0xD1CB0004, 0x03D208F5
.long 0x0A080918
.long 0x0A0808F0
.long 0x0A30083E
.long 0x0A0832FF, 0x3D372713
.long 0xD1CB0004, 0x03CA0919
.long 0x0A080919
.long 0x0A0808FF, 0x40135761
.long 0x7E084104
.long 0xBF800000
.long 0x020808F2
.long 0x7E084504
.long 0xBF800000
.long 0xD1CB0004, 0x03D208F5
.long 0x0A080919
.long 0x0A0808F0
.long 0x0A32083E
.long 0x7E301518
.long 0x7E321519
.long 0xD2A00018, 0x00023318
.long 0xE070D000, 0x80141813
.long 0xBF800000
	;; [unrolled: 38-line block ×4, first 2 shown]
.long 0xBF800000
.long 0xBF820000
	;; [unrolled: 1-line block ×3, first 2 shown]
.long 0x815684FF, 0x000084C0
.long 0x80545654
.long 0x82558055
	;; [unrolled: 1-line block ×6, first 2 shown]
.long 0xC0020CDA, 0x00000000
.long 0xBEC100F2
.long 0xBF128036
	;; [unrolled: 1-line block ×3, first 2 shown]
.long 0xC002105B, 0x00000000
.long 0xBEC80038
.long 0xBEC90039
.long 0xBECB00FF, 0x00020000
.long 0xBF128038
.long 0xBF840002
	;; [unrolled: 1-line block ×12, first 2 shown]
.long 0xBECF00FF, 0x00020000
.long 0xBF12803A
.long 0xBF840002
	;; [unrolled: 1-line block ×8, first 2 shown]
.long 0x924202FF, 0x00000080
.long 0x68106842
.long 0x9242043D
.long 0x68101042
.long 0x24101082
.long 0xE0501000, 0x80130408
.long 0x24106882
.long 0xBF8C0F70
.long 0xBF8A0000
.long 0xD81A0000, 0x00000408
.long 0xBF820012
.long 0xB4BC0004
.long 0xBF850010
.long 0x924E4E82
.long 0x924202FF, 0x00000080
.long 0x68106842
	;; [unrolled: 5-line block ×4, first 2 shown]
.long 0x7E080230
.long 0xBF8CC07F
.long 0xD1050004, 0x00006704
.long 0xD1050004, 0x00008304
.long 0xBF800000
.long 0x7E600504
	;; [unrolled: 1-line block ×4, first 2 shown]
.long 0x86541CFF, 0x0000007F
.long 0x805514C1
.long 0xBF095502
	;; [unrolled: 1-line block ×29, first 2 shown]
.long 0x924202FF, 0x00000080
.long 0xD1350009, 0x00008500
.long 0x24121282
.long 0xBF8CC07F
	;; [unrolled: 1-line block ×3, first 2 shown]
.long 0xD8EC0000, 0x0C000009
.long 0x24140082
.long 0xE0541000, 0x80120E0A
.long 0xD1FE0007, 0x02060103
	;; [unrolled: 1-line block ×10, first 2 shown]
.long 0xBF800001
.long 0xBF800000
	;; [unrolled: 1-line block ×11, first 2 shown]
.long 0xD0CC0038, 0x0001004A
.long 0xD100000E, 0x00E21CF2
	;; [unrolled: 1-line block ×5, first 2 shown]
.long 0x7E201510
.long 0x7E221511
.long 0xD2A00010, 0x00022310
.long 0xE070D000, 0x80031007
.long 0xBF800000
.long 0xD0CC0038, 0x0001004A
.long 0xD100000E, 0x00E21CF2
.long 0xD100000F, 0x00E21EF2
.long 0xD3B14012, 0x1802250E
.long 0xD3B24012, 0x1802250C
.long 0x7E241512
.long 0x7E261513
.long 0xD2A00012, 0x00022712
.long 0x8E428128
.long 0x800C420C
.long 0x820D800D
.long 0xE070D000, 0x80031207
.long 0xBF800000
.long 0xD0CC0038, 0x0001004A
.long 0xD100000E, 0x00E21CF2
.long 0xD100000F, 0x00E21EF2
.long 0xD3B14014, 0x1802290E
.long 0xD3B24014, 0x1802290C
.long 0x7E281514
.long 0x7E2A1515
.long 0xD2A00014, 0x00022B14
.long 0x8E428128
.long 0x800C420C
.long 0x820D800D
	;; [unrolled: 13-line block ×3, first 2 shown]
.long 0xE070D000, 0x80031607
.long 0xBF800000
.long 0xBF800000
	;; [unrolled: 1-line block ×3, first 2 shown]
.long 0x924202FF, 0x00000080
.long 0xD1350009, 0x00008500
.long 0x24121282
.long 0xBF8CC07F
	;; [unrolled: 1-line block ×3, first 2 shown]
.long 0xD8EC0000, 0x0C000009
.long 0x24140082
.long 0xE0541000, 0x80120E0A
.long 0xD1FE0007, 0x02060103
.long 0xD3D84010, 0x18000100
.long 0xD3D84011, 0x18000104
.long 0xD3D84012, 0x18000101
.long 0xD3D84013, 0x18000105
.long 0xD3D84014, 0x18000102
.long 0xD3D84015, 0x18000106
.long 0xD3D84016, 0x18000103
.long 0xD3D84017, 0x18000107
.long 0xBF800001
.long 0xBF800000
	;; [unrolled: 1-line block ×11, first 2 shown]
.long 0xD0CC0038, 0x0001004A
.long 0xD100000E, 0x00E21CF2
	;; [unrolled: 1-line block ×7, first 2 shown]
.long 0x7E201510
.long 0x7E221511
.long 0xD2A00010, 0x00022310
.long 0xE070D000, 0x80031007
.long 0xBF800000
.long 0xD0CC0038, 0x0001004A
.long 0xD100000E, 0x00E21CF2
.long 0xD100000F, 0x00E21EF2
.long 0xD3B14012, 0x1802250E
.long 0xD3B24012, 0x1802250C
.long 0x262424FF, 0x7FFFFFFF
.long 0x262626FF, 0x7FFFFFFF
.long 0x7E241512
.long 0x7E261513
.long 0xD2A00012, 0x00022712
.long 0x8E428128
.long 0x800C420C
.long 0x820D800D
.long 0xE070D000, 0x80031207
.long 0xBF800000
.long 0xD0CC0038, 0x0001004A
.long 0xD100000E, 0x00E21CF2
.long 0xD100000F, 0x00E21EF2
.long 0xD3B14014, 0x1802290E
.long 0xD3B24014, 0x1802290C
.long 0x262828FF, 0x7FFFFFFF
.long 0x262A2AFF, 0x7FFFFFFF
.long 0x7E281514
.long 0x7E2A1515
.long 0xD2A00014, 0x00022B14
.long 0x8E428128
.long 0x800C420C
.long 0x820D800D
	;; [unrolled: 15-line block ×3, first 2 shown]
.long 0xE070D000, 0x80031607
.long 0xBF800000
.long 0xBF800000
	;; [unrolled: 1-line block ×3, first 2 shown]
.long 0x924202FF, 0x00000080
.long 0xD1350009, 0x00008500
.long 0x24121282
.long 0xBF8CC07F
	;; [unrolled: 1-line block ×3, first 2 shown]
.long 0xD8EC0000, 0x0C000009
.long 0x24140082
.long 0xE0541000, 0x80120E0A
.long 0xD1FE0007, 0x02060103
	;; [unrolled: 1-line block ×10, first 2 shown]
.long 0xBF800001
.long 0xBF800000
	;; [unrolled: 1-line block ×11, first 2 shown]
.long 0xD0CC0038, 0x0001004A
.long 0xD100000E, 0x00E21CF2
	;; [unrolled: 1-line block ×6, first 2 shown]
.long 0x1420203F
.long 0x00202080
.long 0xD044006A, 0x00007D11
.long 0x1422223F
.long 0x00222280
	;; [unrolled: 1-line block ×4, first 2 shown]
.long 0xD2A00010, 0x00022310
.long 0xE070D000, 0x80031007
.long 0xBF800000
.long 0xD0CC0038, 0x0001004A
.long 0xD100000E, 0x00E21CF2
.long 0xD100000F, 0x00E21EF2
.long 0xD3B14012, 0x1802250E
.long 0xD3B24012, 0x1802250C
.long 0xD044006A, 0x00007D12
.long 0x1424243F
.long 0x00242480
.long 0xD044006A, 0x00007D13
.long 0x1426263F
.long 0x00262680
.long 0x7E241512
.long 0x7E261513
.long 0xD2A00012, 0x00022712
.long 0x8E428128
.long 0x800C420C
.long 0x820D800D
.long 0xE070D000, 0x80031207
.long 0xBF800000
.long 0xD0CC0038, 0x0001004A
.long 0xD100000E, 0x00E21CF2
.long 0xD100000F, 0x00E21EF2
.long 0xD3B14014, 0x1802290E
.long 0xD3B24014, 0x1802290C
.long 0xD044006A, 0x00007D14
.long 0x1428283F
.long 0x00282880
.long 0xD044006A, 0x00007D15
.long 0x142A2A3F
.long 0x002A2A80
.long 0x7E281514
.long 0x7E2A1515
.long 0xD2A00014, 0x00022B14
.long 0x8E428128
.long 0x800C420C
.long 0x820D800D
	;; [unrolled: 19-line block ×3, first 2 shown]
.long 0xE070D000, 0x80031607
.long 0xBF800000
.long 0xBF800000
	;; [unrolled: 1-line block ×3, first 2 shown]
.long 0x924202FF, 0x00000080
.long 0xD1350009, 0x00008500
.long 0x24121282
.long 0xBF8CC07F
	;; [unrolled: 1-line block ×3, first 2 shown]
.long 0xD8EC0000, 0x0C000009
.long 0x24140082
.long 0xE0541000, 0x80120E0A
.long 0xD1FE0007, 0x02060103
	;; [unrolled: 1-line block ×10, first 2 shown]
.long 0xBF800001
.long 0xBF800000
	;; [unrolled: 1-line block ×11, first 2 shown]
.long 0xD0CC0038, 0x0001004A
.long 0xD100000E, 0x00E21CF2
	;; [unrolled: 1-line block ×7, first 2 shown]
.long 0x0A080910
.long 0x0A0808FF, 0x40135761
.long 0x7E084104
.long 0xBF800000
	;; [unrolled: 1-line block ×5, first 2 shown]
.long 0xD1CB0004, 0x03D208F5
.long 0x0A080910
.long 0x0A2008F0
.long 0x0A0822FF, 0x3D372713
.long 0xD1CB0004, 0x03CA0911
.long 0x0A080911
.long 0x0A0808FF, 0x40135761
.long 0x7E084104
.long 0xBF800000
	;; [unrolled: 1-line block ×5, first 2 shown]
.long 0xD1CB0004, 0x03D208F5
.long 0x0A080911
.long 0x0A2208F0
	;; [unrolled: 1-line block ×4, first 2 shown]
.long 0xD2A00010, 0x00022310
.long 0xE070D000, 0x80031007
.long 0xBF800000
.long 0xD0CC0038, 0x0001004A
.long 0xD100000E, 0x00E21CF2
.long 0xD100000F, 0x00E21EF2
.long 0xD3B14012, 0x1802250E
.long 0xD3B24012, 0x1802250C
.long 0x0A0824FF, 0x3D372713
.long 0xD1CB0004, 0x03CA0912
.long 0x0A080912
.long 0x0A0808FF, 0x40135761
.long 0x7E084104
.long 0xBF800000
.long 0x020808F2
.long 0x7E084504
.long 0xBF800000
.long 0xD1CB0004, 0x03D208F5
.long 0x0A080912
.long 0x0A2408F0
.long 0x0A0826FF, 0x3D372713
.long 0xD1CB0004, 0x03CA0913
.long 0x0A080913
.long 0x0A0808FF, 0x40135761
.long 0x7E084104
.long 0xBF800000
.long 0x020808F2
.long 0x7E084504
.long 0xBF800000
.long 0xD1CB0004, 0x03D208F5
.long 0x0A080913
.long 0x0A2608F0
.long 0x7E241512
.long 0x7E261513
.long 0xD2A00012, 0x00022712
.long 0x8E428128
.long 0x800C420C
.long 0x820D800D
.long 0xE070D000, 0x80031207
.long 0xBF800000
.long 0xD0CC0038, 0x0001004A
.long 0xD100000E, 0x00E21CF2
.long 0xD100000F, 0x00E21EF2
.long 0xD3B14014, 0x1802290E
.long 0xD3B24014, 0x1802290C
.long 0x0A0828FF, 0x3D372713
.long 0xD1CB0004, 0x03CA0914
.long 0x0A080914
.long 0x0A0808FF, 0x40135761
.long 0x7E084104
.long 0xBF800000
.long 0x020808F2
.long 0x7E084504
.long 0xBF800000
.long 0xD1CB0004, 0x03D208F5
.long 0x0A080914
.long 0x0A2808F0
.long 0x0A082AFF, 0x3D372713
.long 0xD1CB0004, 0x03CA0915
.long 0x0A080915
.long 0x0A0808FF, 0x40135761
.long 0x7E084104
.long 0xBF800000
.long 0x020808F2
.long 0x7E084504
.long 0xBF800000
.long 0xD1CB0004, 0x03D208F5
.long 0x0A080915
.long 0x0A2A08F0
.long 0x7E281514
.long 0x7E2A1515
.long 0xD2A00014, 0x00022B14
.long 0x8E428128
.long 0x800C420C
.long 0x820D800D
	;; [unrolled: 37-line block ×3, first 2 shown]
.long 0xE070D000, 0x80031607
.long 0xBF800000
.long 0xBF800000
	;; [unrolled: 1-line block ×3, first 2 shown]
.long 0x924202FF, 0x00000080
.long 0xD1350009, 0x00008500
.long 0x24121282
.long 0xBF8CC07F
	;; [unrolled: 1-line block ×3, first 2 shown]
.long 0xD8EC0000, 0x0C000009
.long 0x24140082
.long 0xE0541000, 0x80120E0A
.long 0xD1FE0007, 0x02060103
	;; [unrolled: 1-line block ×10, first 2 shown]
.long 0xBF800001
.long 0xBF800000
	;; [unrolled: 1-line block ×11, first 2 shown]
.long 0xD0CC0038, 0x0001004A
.long 0xD100000E, 0x00E21CF2
	;; [unrolled: 1-line block ×5, first 2 shown]
.long 0x0A08203E
.long 0xD046006A, 0x00010110
.long 0x00202104
.long 0x0A08223E
.long 0xD046006A, 0x00010111
.long 0x00222304
.long 0x7E201510
	;; [unrolled: 1-line block ×3, first 2 shown]
.long 0xD2A00010, 0x00022310
.long 0xE070D000, 0x80031007
.long 0xBF800000
.long 0xD0CC0038, 0x0001004A
.long 0xD100000E, 0x00E21CF2
.long 0xD100000F, 0x00E21EF2
.long 0xD3B14012, 0x1802250E
.long 0xD3B24012, 0x1802250C
.long 0x0A08243E
.long 0xD046006A, 0x00010112
.long 0x00242504
.long 0x0A08263E
.long 0xD046006A, 0x00010113
.long 0x00262704
.long 0x7E241512
.long 0x7E261513
.long 0xD2A00012, 0x00022712
.long 0x8E428128
.long 0x800C420C
.long 0x820D800D
.long 0xE070D000, 0x80031207
.long 0xBF800000
.long 0xD0CC0038, 0x0001004A
.long 0xD100000E, 0x00E21CF2
.long 0xD100000F, 0x00E21EF2
.long 0xD3B14014, 0x1802290E
.long 0xD3B24014, 0x1802290C
.long 0x0A08283E
.long 0xD046006A, 0x00010114
.long 0x00282904
.long 0x0A082A3E
.long 0xD046006A, 0x00010115
.long 0x002A2B04
.long 0x7E281514
.long 0x7E2A1515
.long 0xD2A00014, 0x00022B14
.long 0x8E428128
.long 0x800C420C
.long 0x820D800D
	;; [unrolled: 19-line block ×3, first 2 shown]
.long 0xE070D000, 0x80031607
.long 0xBF800000
.long 0xBF800000
	;; [unrolled: 1-line block ×3, first 2 shown]
.long 0x924202FF, 0x00000080
.long 0xD1350009, 0x00008500
.long 0x24121282
.long 0xBF8CC07F
	;; [unrolled: 1-line block ×3, first 2 shown]
.long 0xD8EC0000, 0x0C000009
.long 0x24140082
.long 0xE0541000, 0x80120E0A
.long 0xD1FE0007, 0x02060103
	;; [unrolled: 1-line block ×10, first 2 shown]
.long 0xBF800001
.long 0xBF800000
	;; [unrolled: 1-line block ×11, first 2 shown]
.long 0xD0CC0038, 0x0001004A
.long 0xD100000E, 0x00E21CF2
	;; [unrolled: 1-line block ×7, first 2 shown]
.long 0x7E201510
.long 0x7E221511
.long 0xD2A00010, 0x00022310
.long 0xE070D000, 0x80031007
.long 0xBF800000
.long 0xD0CC0038, 0x0001004A
.long 0xD100000E, 0x00E21CF2
.long 0xD100000F, 0x00E21EF2
.long 0xD3B14012, 0x1802250E
.long 0xD3B24012, 0x1802250C
.long 0xD10B0012, 0x00010112
.long 0xD10B0013, 0x00010113
.long 0x7E241512
.long 0x7E261513
.long 0xD2A00012, 0x00022712
.long 0x8E428128
.long 0x800C420C
.long 0x820D800D
.long 0xE070D000, 0x80031207
.long 0xBF800000
.long 0xD0CC0038, 0x0001004A
.long 0xD100000E, 0x00E21CF2
.long 0xD100000F, 0x00E21EF2
.long 0xD3B14014, 0x1802290E
.long 0xD3B24014, 0x1802290C
.long 0xD10B0014, 0x00010114
.long 0xD10B0015, 0x00010115
.long 0x7E281514
.long 0x7E2A1515
.long 0xD2A00014, 0x00022B14
.long 0x8E428128
.long 0x800C420C
.long 0x820D800D
	;; [unrolled: 15-line block ×3, first 2 shown]
.long 0xE070D000, 0x80031607
.long 0xBF800000
.long 0xBF800000
	;; [unrolled: 1-line block ×3, first 2 shown]
.long 0x924202FF, 0x00000080
.long 0xD1350009, 0x00008500
.long 0x24121282
.long 0xBF8CC07F
	;; [unrolled: 1-line block ×3, first 2 shown]
.long 0xD8EC0000, 0x0C000009
.long 0x24140082
.long 0xE0541000, 0x80120E0A
.long 0xD1FE0007, 0x02060103
	;; [unrolled: 1-line block ×10, first 2 shown]
.long 0xBF800001
.long 0xBF800000
	;; [unrolled: 1-line block ×11, first 2 shown]
.long 0xD0CC0038, 0x0001004A
.long 0xD100000E, 0x00E21CF2
	;; [unrolled: 1-line block ×6, first 2 shown]
.long 0x7E204110
.long 0xBF800000
	;; [unrolled: 1-line block ×5, first 2 shown]
.long 0x0A2222FF, 0xBFB8AA3B
.long 0x7E224111
.long 0xBF800000
	;; [unrolled: 1-line block ×7, first 2 shown]
.long 0xD2A00010, 0x00022310
.long 0xE070D000, 0x80031007
.long 0xBF800000
.long 0xD0CC0038, 0x0001004A
.long 0xD100000E, 0x00E21CF2
.long 0xD100000F, 0x00E21EF2
.long 0xD3B14012, 0x1802250E
.long 0xD3B24012, 0x1802250C
.long 0x0A2424FF, 0xBFB8AA3B
.long 0x7E244112
.long 0xBF800000
.long 0x022424F2
.long 0x7E244512
.long 0xBF800000
.long 0x0A2626FF, 0xBFB8AA3B
.long 0x7E264113
.long 0xBF800000
.long 0x022626F2
.long 0x7E264513
.long 0xBF800000
.long 0x7E241512
.long 0x7E261513
.long 0xD2A00012, 0x00022712
.long 0x8E428128
.long 0x800C420C
.long 0x820D800D
.long 0xE070D000, 0x80031207
.long 0xBF800000
.long 0xD0CC0038, 0x0001004A
.long 0xD100000E, 0x00E21CF2
.long 0xD100000F, 0x00E21EF2
.long 0xD3B14014, 0x1802290E
.long 0xD3B24014, 0x1802290C
.long 0x0A2828FF, 0xBFB8AA3B
.long 0x7E284114
.long 0xBF800000
.long 0x022828F2
.long 0x7E284514
.long 0xBF800000
.long 0x0A2A2AFF, 0xBFB8AA3B
.long 0x7E2A4115
.long 0xBF800000
.long 0x022A2AF2
.long 0x7E2A4515
.long 0xBF800000
.long 0x7E281514
.long 0x7E2A1515
.long 0xD2A00014, 0x00022B14
.long 0x8E428128
.long 0x800C420C
.long 0x820D800D
.long 0xE070D000, 0x80031407
.long 0xBF800000
.long 0xD0CC0038, 0x0001004A
.long 0xD100000E, 0x00E21CF2
.long 0xD100000F, 0x00E21EF2
.long 0xD3B14016, 0x18022D0E
.long 0xD3B24016, 0x18022D0C
.long 0x0A2C2CFF, 0xBFB8AA3B
.long 0x7E2C4116
.long 0xBF800000
.long 0x022C2CF2
.long 0x7E2C4516
.long 0xBF800000
.long 0x0A2E2EFF, 0xBFB8AA3B
.long 0x7E2E4117
.long 0xBF800000
.long 0x022E2EF2
.long 0x7E2E4517
.long 0xBF800000
.long 0x7E2C1516
.long 0x7E2E1517
.long 0xD2A00016, 0x00022F16
.long 0x8E428128
.long 0x800C420C
.long 0x820D800D
.long 0xE070D000, 0x80031607
.long 0xBF800000
.long 0xBF800000
	;; [unrolled: 1-line block ×3, first 2 shown]
.long 0x924202FF, 0x00000080
.long 0xD1350009, 0x00008500
.long 0x24121282
.long 0xBF8CC07F
	;; [unrolled: 1-line block ×3, first 2 shown]
.long 0xD8EC0000, 0x0C000009
.long 0x24140082
.long 0xE0541000, 0x80120E0A
.long 0xD1FE0007, 0x02060103
	;; [unrolled: 1-line block ×10, first 2 shown]
.long 0xBF800001
.long 0xBF800000
.long 0x0A202030
.long 0x0A222230
.long 0x0A242430
.long 0x0A262630
.long 0x0A282830
.long 0x0A2A2A30
.long 0x0A2C2C30
.long 0x0A2E2E30
.long 0xBF8C0000
.long 0xD0CC0038, 0x0001004A
.long 0xD100000E, 0x00E21CF2
	;; [unrolled: 1-line block ×5, first 2 shown]
.long 0x0A20203E
.long 0x0A2020FF, 0x4038AA3B
.long 0x7E204110
.long 0xBF800000
	;; [unrolled: 1-line block ×5, first 2 shown]
.long 0xD1CB0010, 0x03CA20F5
.long 0x0A20203F
.long 0x0A22223E
.long 0x0A2222FF, 0x4038AA3B
.long 0x7E224111
.long 0xBF800000
	;; [unrolled: 1-line block ×5, first 2 shown]
.long 0xD1CB0011, 0x03CA22F5
.long 0x0A22223F
.long 0x7E201510
	;; [unrolled: 1-line block ×3, first 2 shown]
.long 0xD2A00010, 0x00022310
.long 0xE070D000, 0x80031007
.long 0xBF800000
.long 0xD0CC0038, 0x0001004A
.long 0xD100000E, 0x00E21CF2
.long 0xD100000F, 0x00E21EF2
.long 0xD3B14012, 0x1802250E
.long 0xD3B24012, 0x1802250C
.long 0x0A24243E
.long 0x0A2424FF, 0x4038AA3B
.long 0x7E244112
.long 0xBF800000
.long 0x022424F2
.long 0x7E244512
.long 0xBF800000
.long 0xD1CB0012, 0x03CA24F5
.long 0x0A24243F
.long 0x0A26263E
.long 0x0A2626FF, 0x4038AA3B
.long 0x7E264113
.long 0xBF800000
.long 0x022626F2
.long 0x7E264513
.long 0xBF800000
.long 0xD1CB0013, 0x03CA26F5
.long 0x0A26263F
.long 0x7E241512
.long 0x7E261513
.long 0xD2A00012, 0x00022712
.long 0x8E428128
.long 0x800C420C
.long 0x820D800D
.long 0xE070D000, 0x80031207
.long 0xBF800000
.long 0xD0CC0038, 0x0001004A
.long 0xD100000E, 0x00E21CF2
.long 0xD100000F, 0x00E21EF2
.long 0xD3B14014, 0x1802290E
.long 0xD3B24014, 0x1802290C
.long 0x0A28283E
.long 0x0A2828FF, 0x4038AA3B
.long 0x7E284114
.long 0xBF800000
.long 0x022828F2
.long 0x7E284514
.long 0xBF800000
.long 0xD1CB0014, 0x03CA28F5
.long 0x0A28283F
.long 0x0A2A2A3E
.long 0x0A2A2AFF, 0x4038AA3B
.long 0x7E2A4115
.long 0xBF800000
.long 0x022A2AF2
.long 0x7E2A4515
.long 0xBF800000
.long 0xD1CB0015, 0x03CA2AF5
.long 0x0A2A2A3F
.long 0x7E281514
.long 0x7E2A1515
.long 0xD2A00014, 0x00022B14
.long 0x8E428128
.long 0x800C420C
.long 0x820D800D
	;; [unrolled: 31-line block ×3, first 2 shown]
.long 0xE070D000, 0x80031607
.long 0xBF800000
.long 0xBF800000
	;; [unrolled: 1-line block ×3, first 2 shown]
.long 0x924202FF, 0x00000080
.long 0xD1350009, 0x00008500
.long 0x24121282
.long 0xBF8CC07F
.long 0xBF8A0000
.long 0xD8EC0000, 0x0C000009
.long 0x24140082
.long 0xE0541000, 0x80120E0A
.long 0xD1FE0007, 0x02060103
	;; [unrolled: 1-line block ×10, first 2 shown]
.long 0xBF800001
.long 0xBF800000
	;; [unrolled: 1-line block ×11, first 2 shown]
.long 0xD0CC0038, 0x0001004A
.long 0xD100000E, 0x00E21CF2
	;; [unrolled: 1-line block ×7, first 2 shown]
.long 0x0A080910
.long 0x0A0808FF, 0x40135761
.long 0x7E084104
.long 0xBF800000
	;; [unrolled: 1-line block ×5, first 2 shown]
.long 0xD1CB0004, 0x03D208F5
.long 0x0A080910
.long 0x0A0808F0
	;; [unrolled: 1-line block ×3, first 2 shown]
.long 0x0A0822FF, 0x3D372713
.long 0xD1CB0004, 0x03CA0911
.long 0x0A080911
.long 0x0A0808FF, 0x40135761
.long 0x7E084104
.long 0xBF800000
	;; [unrolled: 1-line block ×5, first 2 shown]
.long 0xD1CB0004, 0x03D208F5
.long 0x0A080911
.long 0x0A0808F0
	;; [unrolled: 1-line block ×5, first 2 shown]
.long 0xD2A00010, 0x00022310
.long 0xE070D000, 0x80031007
.long 0xBF800000
.long 0xD0CC0038, 0x0001004A
.long 0xD100000E, 0x00E21CF2
.long 0xD100000F, 0x00E21EF2
.long 0xD3B14012, 0x1802250E
.long 0xD3B24012, 0x1802250C
.long 0x0A0824FF, 0x3D372713
.long 0xD1CB0004, 0x03CA0912
.long 0x0A080912
.long 0x0A0808FF, 0x40135761
.long 0x7E084104
.long 0xBF800000
.long 0x020808F2
.long 0x7E084504
.long 0xBF800000
.long 0xD1CB0004, 0x03D208F5
.long 0x0A080912
.long 0x0A0808F0
.long 0x0A24083E
.long 0x0A0826FF, 0x3D372713
.long 0xD1CB0004, 0x03CA0913
.long 0x0A080913
.long 0x0A0808FF, 0x40135761
.long 0x7E084104
.long 0xBF800000
.long 0x020808F2
.long 0x7E084504
.long 0xBF800000
.long 0xD1CB0004, 0x03D208F5
.long 0x0A080913
.long 0x0A0808F0
.long 0x0A26083E
.long 0x7E241512
.long 0x7E261513
.long 0xD2A00012, 0x00022712
.long 0x8E428128
.long 0x800C420C
.long 0x820D800D
.long 0xE070D000, 0x80031207
.long 0xBF800000
.long 0xD0CC0038, 0x0001004A
.long 0xD100000E, 0x00E21CF2
.long 0xD100000F, 0x00E21EF2
.long 0xD3B14014, 0x1802290E
.long 0xD3B24014, 0x1802290C
.long 0x0A0828FF, 0x3D372713
.long 0xD1CB0004, 0x03CA0914
.long 0x0A080914
.long 0x0A0808FF, 0x40135761
.long 0x7E084104
.long 0xBF800000
.long 0x020808F2
.long 0x7E084504
.long 0xBF800000
.long 0xD1CB0004, 0x03D208F5
.long 0x0A080914
.long 0x0A0808F0
.long 0x0A28083E
.long 0x0A082AFF, 0x3D372713
.long 0xD1CB0004, 0x03CA0915
.long 0x0A080915
.long 0x0A0808FF, 0x40135761
.long 0x7E084104
.long 0xBF800000
.long 0x020808F2
.long 0x7E084504
.long 0xBF800000
.long 0xD1CB0004, 0x03D208F5
.long 0x0A080915
.long 0x0A0808F0
.long 0x0A2A083E
.long 0x7E281514
.long 0x7E2A1515
.long 0xD2A00014, 0x00022B14
.long 0x8E428128
.long 0x800C420C
.long 0x820D800D
	;; [unrolled: 39-line block ×3, first 2 shown]
.long 0xE070D000, 0x80031607
.long 0xBF800000
.long 0xBF800000
	;; [unrolled: 1-line block ×21, first 2 shown]
.long 0x7E3A02FF, 0x80000000
.long 0xD0C90054, 0x00003900
	;; [unrolled: 1-line block ×3, first 2 shown]
.long 0x86D85854
.long 0x925402FF, 0x00000080
.long 0xD1350008, 0x0000A900
.long 0x24101082
.long 0xD1000008, 0x0162111D
.long 0xBF8CC07F
.long 0xBF8A0000
.long 0xD8EC0000, 0x0A000008
.long 0x24120082
.long 0xE0541000, 0x80120C09
.long 0xD1FE0007, 0x02060103
	;; [unrolled: 1-line block ×8, first 2 shown]
.long 0x86D85854
.long 0x925402FF, 0x00000080
.long 0xD1350011, 0x0000A900
.long 0x24222282
.long 0xD1000011, 0x0162231D
.long 0x24240082
.long 0xD1FE0010, 0x02060103
.long 0xD1000010, 0x0162211D
.long 0xD1196A01, 0x00010301
.long 0xD1340002, 0x00005502
.long 0xD1340003, 0x00005103
.long 0xD0C90054, 0x00003900
.long 0xD0C90058, 0x00003B01
.long 0x86D85854
.long 0x925402FF, 0x00000080
.long 0xD1350016, 0x0000A900
.long 0x242C2C82
.long 0xD1000016, 0x01622D1D
.long 0x242E0082
.long 0xD1FE0013, 0x02060103
.long 0xD1000013, 0x0162271D
.long 0xD1196A01, 0x00010301
.long 0xD1340002, 0x00005502
.long 0xD1340003, 0x00005103
.long 0xD0C90054, 0x00003900
.long 0xD0C90058, 0x00003B01
	;; [unrolled: 13-line block ×3, first 2 shown]
.long 0xD3D84019, 0x18000106
.long 0xD3D8401E, 0x18000103
	;; [unrolled: 1-line block ×3, first 2 shown]
.long 0xBF800001
.long 0xBF800000
	;; [unrolled: 1-line block ×11, first 2 shown]
.long 0xD0CC0038, 0x0001004A
.long 0xD100000C, 0x00E218F2
.long 0xD100000D, 0x00E21AF2
.long 0xD3B1400E, 0x18021D0C
.long 0xD3B2400E, 0x18021D0A
.long 0x7E1C150E
.long 0x7E1E150F
.long 0xD2A0000E, 0x00021F0E
.long 0xE070D000, 0x80030E07
.long 0xBF800000
.long 0xD0CC0038, 0x0001004A
.long 0xD100000C, 0x00E218F2
.long 0xD100000D, 0x00E21AF2
.long 0xD3B14014, 0x1802290C
.long 0xD3B24014, 0x1802290A
.long 0x7E281514
.long 0x7E2A1515
.long 0xD2A00014, 0x00022B14
.long 0xE070D000, 0x80031410
.long 0xBF800000
	;; [unrolled: 10-line block ×4, first 2 shown]
.long 0xBF800000
.long 0xBF8207EF
.long 0x7E3A02FF, 0x80000000
.long 0xD0C90054, 0x00003900
	;; [unrolled: 1-line block ×3, first 2 shown]
.long 0x86D85854
.long 0x925402FF, 0x00000080
.long 0xD1350008, 0x0000A900
.long 0x24101082
.long 0xD1000008, 0x0162111D
.long 0xBF8CC07F
.long 0xBF8A0000
.long 0xD8EC0000, 0x0A000008
.long 0x24120082
.long 0xE0541000, 0x80120C09
.long 0xD1FE0007, 0x02060103
	;; [unrolled: 1-line block ×8, first 2 shown]
.long 0x86D85854
.long 0x925402FF, 0x00000080
.long 0xD1350011, 0x0000A900
.long 0x24222282
.long 0xD1000011, 0x0162231D
.long 0x24240082
.long 0xD1FE0010, 0x02060103
.long 0xD1000010, 0x0162211D
.long 0xD1196A01, 0x00010301
.long 0xD1340002, 0x00005502
.long 0xD1340003, 0x00005103
.long 0xD0C90054, 0x00003900
.long 0xD0C90058, 0x00003B01
.long 0x86D85854
.long 0x925402FF, 0x00000080
.long 0xD1350016, 0x0000A900
.long 0x242C2C82
.long 0xD1000016, 0x01622D1D
.long 0x242E0082
.long 0xD1FE0013, 0x02060103
.long 0xD1000013, 0x0162271D
.long 0xD1196A01, 0x00010301
.long 0xD1340002, 0x00005502
.long 0xD1340003, 0x00005103
.long 0xD0C90054, 0x00003900
.long 0xD0C90058, 0x00003B01
	;; [unrolled: 13-line block ×3, first 2 shown]
.long 0xD3D84019, 0x18000106
.long 0xD3D8401E, 0x18000103
	;; [unrolled: 1-line block ×3, first 2 shown]
.long 0xBF800001
.long 0xBF800000
	;; [unrolled: 1-line block ×11, first 2 shown]
.long 0xD0CC0038, 0x0001004A
.long 0xD100000C, 0x00E218F2
.long 0xD100000D, 0x00E21AF2
.long 0xD3B1400E, 0x18021D0C
.long 0xD3B2400E, 0x18021D0A
.long 0x261C1CFF, 0x7FFFFFFF
.long 0x261E1EFF, 0x7FFFFFFF
.long 0x7E1C150E
.long 0x7E1E150F
.long 0xD2A0000E, 0x00021F0E
.long 0xE070D000, 0x80030E07
.long 0xBF800000
.long 0xD0CC0038, 0x0001004A
.long 0xD100000C, 0x00E218F2
.long 0xD100000D, 0x00E21AF2
.long 0xD3B14014, 0x1802290C
.long 0xD3B24014, 0x1802290A
.long 0x262828FF, 0x7FFFFFFF
.long 0x262A2AFF, 0x7FFFFFFF
.long 0x7E281514
.long 0x7E2A1515
.long 0xD2A00014, 0x00022B14
.long 0xE070D000, 0x80031410
.long 0xBF800000
.long 0xD0CC0038, 0x0001004A
.long 0xD100000C, 0x00E218F2
.long 0xD100000D, 0x00E21AF2
.long 0xD3B14018, 0x1802310C
.long 0xD3B24018, 0x1802310A
.long 0x263030FF, 0x7FFFFFFF
.long 0x263232FF, 0x7FFFFFFF
.long 0x7E301518
.long 0x7E321519
.long 0xD2A00018, 0x00023318
.long 0xE070D000, 0x80031813
.long 0xBF800000
.long 0xD0CC0038, 0x0001004A
.long 0xD100000C, 0x00E218F2
.long 0xD100000D, 0x00E21AF2
.long 0xD3B1401E, 0x18023D0C
.long 0xD3B2401E, 0x18023D0A
.long 0x263C3CFF, 0x7FFFFFFF
.long 0x263E3EFF, 0x7FFFFFFF
.long 0x7E3C151E
.long 0x7E3E151F
.long 0xD2A0001E, 0x00023F1E
.long 0xE070D000, 0x80031E1A
.long 0xBF800000
.long 0xBF800000
.long 0xBF820720
.long 0x7E3A02FF, 0x80000000
.long 0xD0C90054, 0x00003900
	;; [unrolled: 1-line block ×3, first 2 shown]
.long 0x86D85854
.long 0x925402FF, 0x00000080
.long 0xD1350008, 0x0000A900
.long 0x24101082
.long 0xD1000008, 0x0162111D
.long 0xBF8CC07F
.long 0xBF8A0000
.long 0xD8EC0000, 0x0A000008
.long 0x24120082
.long 0xE0541000, 0x80120C09
.long 0xD1FE0007, 0x02060103
	;; [unrolled: 1-line block ×8, first 2 shown]
.long 0x86D85854
.long 0x925402FF, 0x00000080
.long 0xD1350011, 0x0000A900
.long 0x24222282
.long 0xD1000011, 0x0162231D
.long 0x24240082
.long 0xD1FE0010, 0x02060103
.long 0xD1000010, 0x0162211D
.long 0xD1196A01, 0x00010301
.long 0xD1340002, 0x00005502
.long 0xD1340003, 0x00005103
.long 0xD0C90054, 0x00003900
.long 0xD0C90058, 0x00003B01
.long 0x86D85854
.long 0x925402FF, 0x00000080
.long 0xD1350016, 0x0000A900
.long 0x242C2C82
.long 0xD1000016, 0x01622D1D
.long 0x242E0082
.long 0xD1FE0013, 0x02060103
.long 0xD1000013, 0x0162271D
.long 0xD1196A01, 0x00010301
.long 0xD1340002, 0x00005502
.long 0xD1340003, 0x00005103
.long 0xD0C90054, 0x00003900
.long 0xD0C90058, 0x00003B01
	;; [unrolled: 13-line block ×3, first 2 shown]
.long 0xD3D84019, 0x18000106
.long 0xD3D8401E, 0x18000103
	;; [unrolled: 1-line block ×3, first 2 shown]
.long 0xBF800001
.long 0xBF800000
.long 0x0A1C1C30
.long 0x0A1E1E30
.long 0x0A282830
.long 0x0A2A2A30
.long 0x0A303030
.long 0x0A323230
.long 0x0A3C3C30
.long 0x0A3E3E30
.long 0xBF8C0000
.long 0xD0CC0038, 0x0001004A
.long 0xD100000C, 0x00E218F2
.long 0xD100000D, 0x00E21AF2
.long 0xD3B1400E, 0x18021D0C
.long 0xD3B2400E, 0x18021D0A
.long 0xD044006A, 0x00007D0E
.long 0x141C1C3F
.long 0x001C1C80
.long 0xD044006A, 0x00007D0F
.long 0x141E1E3F
.long 0x001E1E80
.long 0x7E1C150E
.long 0x7E1E150F
.long 0xD2A0000E, 0x00021F0E
.long 0xE070D000, 0x80030E07
.long 0xBF800000
.long 0xD0CC0038, 0x0001004A
.long 0xD100000C, 0x00E218F2
.long 0xD100000D, 0x00E21AF2
.long 0xD3B14014, 0x1802290C
.long 0xD3B24014, 0x1802290A
.long 0xD044006A, 0x00007D14
.long 0x1428283F
.long 0x00282880
.long 0xD044006A, 0x00007D15
.long 0x142A2A3F
.long 0x002A2A80
.long 0x7E281514
.long 0x7E2A1515
.long 0xD2A00014, 0x00022B14
.long 0xE070D000, 0x80031410
.long 0xBF800000
	;; [unrolled: 16-line block ×4, first 2 shown]
.long 0xBF800000
.long 0xBF820641
.long 0x7E3A02FF, 0x80000000
.long 0xD0C90054, 0x00003900
	;; [unrolled: 1-line block ×3, first 2 shown]
.long 0x86D85854
.long 0x925402FF, 0x00000080
.long 0xD1350008, 0x0000A900
.long 0x24101082
.long 0xD1000008, 0x0162111D
.long 0xBF8CC07F
.long 0xBF8A0000
.long 0xD8EC0000, 0x0A000008
.long 0x24120082
.long 0xE0541000, 0x80120C09
.long 0xD1FE0007, 0x02060103
	;; [unrolled: 1-line block ×8, first 2 shown]
.long 0x86D85854
.long 0x925402FF, 0x00000080
.long 0xD1350011, 0x0000A900
.long 0x24222282
.long 0xD1000011, 0x0162231D
.long 0x24240082
.long 0xD1FE0010, 0x02060103
.long 0xD1000010, 0x0162211D
.long 0xD1196A01, 0x00010301
.long 0xD1340002, 0x00005502
.long 0xD1340003, 0x00005103
.long 0xD0C90054, 0x00003900
.long 0xD0C90058, 0x00003B01
.long 0x86D85854
.long 0x925402FF, 0x00000080
.long 0xD1350016, 0x0000A900
.long 0x242C2C82
.long 0xD1000016, 0x01622D1D
.long 0x242E0082
.long 0xD1FE0013, 0x02060103
.long 0xD1000013, 0x0162271D
.long 0xD1196A01, 0x00010301
.long 0xD1340002, 0x00005502
.long 0xD1340003, 0x00005103
.long 0xD0C90054, 0x00003900
.long 0xD0C90058, 0x00003B01
	;; [unrolled: 13-line block ×3, first 2 shown]
.long 0xD3D84019, 0x18000106
.long 0xD3D8401E, 0x18000103
	;; [unrolled: 1-line block ×3, first 2 shown]
.long 0xBF800001
.long 0xBF800000
	;; [unrolled: 1-line block ×11, first 2 shown]
.long 0xD0CC0038, 0x0001004A
.long 0xD100000C, 0x00E218F2
.long 0xD100000D, 0x00E21AF2
.long 0xD3B1400E, 0x18021D0C
.long 0xD3B2400E, 0x18021D0A
.long 0x0A081CFF, 0x3D372713
.long 0xD1CB0004, 0x03CA090E
.long 0x0A08090E
.long 0x0A0808FF, 0x40135761
.long 0x7E084104
.long 0xBF800000
.long 0x020808F2
.long 0x7E084504
.long 0xBF800000
.long 0xD1CB0004, 0x03D208F5
.long 0x0A08090E
.long 0x0A1C08F0
.long 0x0A081EFF, 0x3D372713
.long 0xD1CB0004, 0x03CA090F
.long 0x0A08090F
.long 0x0A0808FF, 0x40135761
.long 0x7E084104
.long 0xBF800000
.long 0x020808F2
.long 0x7E084504
.long 0xBF800000
.long 0xD1CB0004, 0x03D208F5
.long 0x0A08090F
.long 0x0A1E08F0
.long 0x7E1C150E
.long 0x7E1E150F
.long 0xD2A0000E, 0x00021F0E
.long 0xE070D000, 0x80030E07
.long 0xBF800000
.long 0xD0CC0038, 0x0001004A
.long 0xD100000C, 0x00E218F2
.long 0xD100000D, 0x00E21AF2
.long 0xD3B14014, 0x1802290C
.long 0xD3B24014, 0x1802290A
.long 0x0A0828FF, 0x3D372713
.long 0xD1CB0004, 0x03CA0914
.long 0x0A080914
.long 0x0A0808FF, 0x40135761
.long 0x7E084104
.long 0xBF800000
.long 0x020808F2
.long 0x7E084504
.long 0xBF800000
.long 0xD1CB0004, 0x03D208F5
.long 0x0A080914
.long 0x0A2808F0
.long 0x0A082AFF, 0x3D372713
.long 0xD1CB0004, 0x03CA0915
.long 0x0A080915
.long 0x0A0808FF, 0x40135761
.long 0x7E084104
.long 0xBF800000
.long 0x020808F2
.long 0x7E084504
.long 0xBF800000
.long 0xD1CB0004, 0x03D208F5
.long 0x0A080915
.long 0x0A2A08F0
.long 0x7E281514
.long 0x7E2A1515
.long 0xD2A00014, 0x00022B14
.long 0xE070D000, 0x80031410
.long 0xBF800000
	;; [unrolled: 34-line block ×4, first 2 shown]
.long 0xBF800000
.long 0xBF820502
.long 0x7E3A02FF, 0x80000000
.long 0xD0C90054, 0x00003900
	;; [unrolled: 1-line block ×3, first 2 shown]
.long 0x86D85854
.long 0x925402FF, 0x00000080
.long 0xD1350008, 0x0000A900
.long 0x24101082
.long 0xD1000008, 0x0162111D
.long 0xBF8CC07F
.long 0xBF8A0000
.long 0xD8EC0000, 0x0A000008
.long 0x24120082
.long 0xE0541000, 0x80120C09
.long 0xD1FE0007, 0x02060103
	;; [unrolled: 1-line block ×8, first 2 shown]
.long 0x86D85854
.long 0x925402FF, 0x00000080
.long 0xD1350011, 0x0000A900
.long 0x24222282
.long 0xD1000011, 0x0162231D
.long 0x24240082
.long 0xD1FE0010, 0x02060103
.long 0xD1000010, 0x0162211D
.long 0xD1196A01, 0x00010301
.long 0xD1340002, 0x00005502
.long 0xD1340003, 0x00005103
.long 0xD0C90054, 0x00003900
.long 0xD0C90058, 0x00003B01
.long 0x86D85854
.long 0x925402FF, 0x00000080
.long 0xD1350016, 0x0000A900
.long 0x242C2C82
.long 0xD1000016, 0x01622D1D
.long 0x242E0082
.long 0xD1FE0013, 0x02060103
.long 0xD1000013, 0x0162271D
.long 0xD1196A01, 0x00010301
.long 0xD1340002, 0x00005502
.long 0xD1340003, 0x00005103
.long 0xD0C90054, 0x00003900
.long 0xD0C90058, 0x00003B01
	;; [unrolled: 13-line block ×3, first 2 shown]
.long 0xD3D84019, 0x18000106
.long 0xD3D8401E, 0x18000103
	;; [unrolled: 1-line block ×3, first 2 shown]
.long 0xBF800001
.long 0xBF800000
.long 0x0A1C1C30
.long 0x0A1E1E30
.long 0x0A282830
.long 0x0A2A2A30
.long 0x0A303030
.long 0x0A323230
.long 0x0A3C3C30
.long 0x0A3E3E30
.long 0xBF8C0000
.long 0xD0CC0038, 0x0001004A
.long 0xD100000C, 0x00E218F2
.long 0xD100000D, 0x00E21AF2
.long 0xD3B1400E, 0x18021D0C
.long 0xD3B2400E, 0x18021D0A
.long 0x0A081C3E
.long 0xD046006A, 0x0001010E
.long 0x001C1D04
.long 0x0A081E3E
.long 0xD046006A, 0x0001010F
.long 0x001E1F04
.long 0x7E1C150E
.long 0x7E1E150F
.long 0xD2A0000E, 0x00021F0E
.long 0xE070D000, 0x80030E07
.long 0xBF800000
.long 0xD0CC0038, 0x0001004A
.long 0xD100000C, 0x00E218F2
.long 0xD100000D, 0x00E21AF2
.long 0xD3B14014, 0x1802290C
.long 0xD3B24014, 0x1802290A
.long 0x0A08283E
.long 0xD046006A, 0x00010114
.long 0x00282904
.long 0x0A082A3E
.long 0xD046006A, 0x00010115
.long 0x002A2B04
.long 0x7E281514
.long 0x7E2A1515
.long 0xD2A00014, 0x00022B14
.long 0xE070D000, 0x80031410
.long 0xBF800000
	;; [unrolled: 16-line block ×4, first 2 shown]
.long 0xBF800000
.long 0xBF820423
.long 0x7E3A02FF, 0x80000000
.long 0xD0C90054, 0x00003900
.long 0xD0C90058, 0x00003B01
.long 0x86D85854
.long 0x925402FF, 0x00000080
.long 0xD1350008, 0x0000A900
.long 0x24101082
.long 0xD1000008, 0x0162111D
.long 0xBF8CC07F
.long 0xBF8A0000
.long 0xD8EC0000, 0x0A000008
.long 0x24120082
.long 0xE0541000, 0x80120C09
.long 0xD1FE0007, 0x02060103
	;; [unrolled: 1-line block ×8, first 2 shown]
.long 0x86D85854
.long 0x925402FF, 0x00000080
.long 0xD1350011, 0x0000A900
.long 0x24222282
.long 0xD1000011, 0x0162231D
.long 0x24240082
.long 0xD1FE0010, 0x02060103
.long 0xD1000010, 0x0162211D
.long 0xD1196A01, 0x00010301
.long 0xD1340002, 0x00005502
.long 0xD1340003, 0x00005103
.long 0xD0C90054, 0x00003900
.long 0xD0C90058, 0x00003B01
.long 0x86D85854
.long 0x925402FF, 0x00000080
.long 0xD1350016, 0x0000A900
.long 0x242C2C82
.long 0xD1000016, 0x01622D1D
.long 0x242E0082
.long 0xD1FE0013, 0x02060103
.long 0xD1000013, 0x0162271D
.long 0xD1196A01, 0x00010301
.long 0xD1340002, 0x00005502
.long 0xD1340003, 0x00005103
.long 0xD0C90054, 0x00003900
.long 0xD0C90058, 0x00003B01
	;; [unrolled: 13-line block ×3, first 2 shown]
.long 0xD3D84019, 0x18000106
.long 0xD3D8401E, 0x18000103
	;; [unrolled: 1-line block ×3, first 2 shown]
.long 0xBF800001
.long 0xBF800000
	;; [unrolled: 1-line block ×11, first 2 shown]
.long 0xD0CC0038, 0x0001004A
.long 0xD100000C, 0x00E218F2
.long 0xD100000D, 0x00E21AF2
.long 0xD3B1400E, 0x18021D0C
.long 0xD3B2400E, 0x18021D0A
.long 0xD10B000E, 0x0001010E
.long 0xD10B000F, 0x0001010F
.long 0x7E1C150E
.long 0x7E1E150F
.long 0xD2A0000E, 0x00021F0E
.long 0xE070D000, 0x80030E07
.long 0xBF800000
.long 0xD0CC0038, 0x0001004A
.long 0xD100000C, 0x00E218F2
.long 0xD100000D, 0x00E21AF2
.long 0xD3B14014, 0x1802290C
.long 0xD3B24014, 0x1802290A
.long 0xD10B0014, 0x00010114
.long 0xD10B0015, 0x00010115
.long 0x7E281514
.long 0x7E2A1515
.long 0xD2A00014, 0x00022B14
.long 0xE070D000, 0x80031410
.long 0xBF800000
	;; [unrolled: 12-line block ×4, first 2 shown]
.long 0xBF800000
.long 0xBF820354
.long 0x7E3A02FF, 0x80000000
.long 0xD0C90054, 0x00003900
	;; [unrolled: 1-line block ×3, first 2 shown]
.long 0x86D85854
.long 0x925402FF, 0x00000080
.long 0xD1350008, 0x0000A900
.long 0x24101082
.long 0xD1000008, 0x0162111D
.long 0xBF8CC07F
.long 0xBF8A0000
.long 0xD8EC0000, 0x0A000008
.long 0x24120082
.long 0xE0541000, 0x80120C09
.long 0xD1FE0007, 0x02060103
	;; [unrolled: 1-line block ×8, first 2 shown]
.long 0x86D85854
.long 0x925402FF, 0x00000080
.long 0xD1350011, 0x0000A900
.long 0x24222282
.long 0xD1000011, 0x0162231D
.long 0x24240082
.long 0xD1FE0010, 0x02060103
.long 0xD1000010, 0x0162211D
.long 0xD1196A01, 0x00010301
.long 0xD1340002, 0x00005502
.long 0xD1340003, 0x00005103
.long 0xD0C90054, 0x00003900
.long 0xD0C90058, 0x00003B01
.long 0x86D85854
.long 0x925402FF, 0x00000080
.long 0xD1350016, 0x0000A900
.long 0x242C2C82
.long 0xD1000016, 0x01622D1D
.long 0x242E0082
.long 0xD1FE0013, 0x02060103
.long 0xD1000013, 0x0162271D
.long 0xD1196A01, 0x00010301
.long 0xD1340002, 0x00005502
.long 0xD1340003, 0x00005103
.long 0xD0C90054, 0x00003900
.long 0xD0C90058, 0x00003B01
	;; [unrolled: 13-line block ×3, first 2 shown]
.long 0xD3D84019, 0x18000106
.long 0xD3D8401E, 0x18000103
	;; [unrolled: 1-line block ×3, first 2 shown]
.long 0xBF800001
.long 0xBF800000
	;; [unrolled: 1-line block ×11, first 2 shown]
.long 0xD0CC0038, 0x0001004A
.long 0xD100000C, 0x00E218F2
.long 0xD100000D, 0x00E21AF2
.long 0xD3B1400E, 0x18021D0C
.long 0xD3B2400E, 0x18021D0A
.long 0x0A1C1CFF, 0xBFB8AA3B
.long 0x7E1C410E
.long 0xBF800000
.long 0x021C1CF2
.long 0x7E1C450E
.long 0xBF800000
.long 0x0A1E1EFF, 0xBFB8AA3B
.long 0x7E1E410F
.long 0xBF800000
.long 0x021E1EF2
.long 0x7E1E450F
.long 0xBF800000
.long 0x7E1C150E
.long 0x7E1E150F
.long 0xD2A0000E, 0x00021F0E
.long 0xE070D000, 0x80030E07
.long 0xBF800000
.long 0xD0CC0038, 0x0001004A
.long 0xD100000C, 0x00E218F2
.long 0xD100000D, 0x00E21AF2
.long 0xD3B14014, 0x1802290C
.long 0xD3B24014, 0x1802290A
.long 0x0A2828FF, 0xBFB8AA3B
.long 0x7E284114
.long 0xBF800000
.long 0x022828F2
.long 0x7E284514
.long 0xBF800000
.long 0x0A2A2AFF, 0xBFB8AA3B
.long 0x7E2A4115
.long 0xBF800000
.long 0x022A2AF2
.long 0x7E2A4515
.long 0xBF800000
.long 0x7E281514
.long 0x7E2A1515
.long 0xD2A00014, 0x00022B14
.long 0xE070D000, 0x80031410
.long 0xBF800000
	;; [unrolled: 22-line block ×4, first 2 shown]
.long 0xBF800000
.long 0xBF82025D
.long 0x7E3A02FF, 0x80000000
.long 0xD0C90054, 0x00003900
	;; [unrolled: 1-line block ×3, first 2 shown]
.long 0x86D85854
.long 0x925402FF, 0x00000080
.long 0xD1350008, 0x0000A900
.long 0x24101082
.long 0xD1000008, 0x0162111D
.long 0xBF8CC07F
.long 0xBF8A0000
.long 0xD8EC0000, 0x0A000008
.long 0x24120082
.long 0xE0541000, 0x80120C09
.long 0xD1FE0007, 0x02060103
	;; [unrolled: 1-line block ×8, first 2 shown]
.long 0x86D85854
.long 0x925402FF, 0x00000080
.long 0xD1350011, 0x0000A900
.long 0x24222282
.long 0xD1000011, 0x0162231D
.long 0x24240082
.long 0xD1FE0010, 0x02060103
.long 0xD1000010, 0x0162211D
.long 0xD1196A01, 0x00010301
.long 0xD1340002, 0x00005502
.long 0xD1340003, 0x00005103
.long 0xD0C90054, 0x00003900
.long 0xD0C90058, 0x00003B01
.long 0x86D85854
.long 0x925402FF, 0x00000080
.long 0xD1350016, 0x0000A900
.long 0x242C2C82
.long 0xD1000016, 0x01622D1D
.long 0x242E0082
.long 0xD1FE0013, 0x02060103
.long 0xD1000013, 0x0162271D
.long 0xD1196A01, 0x00010301
.long 0xD1340002, 0x00005502
.long 0xD1340003, 0x00005103
.long 0xD0C90054, 0x00003900
.long 0xD0C90058, 0x00003B01
.long 0x86D85854
.long 0x925402FF, 0x00000080
.long 0xD135001B, 0x0000A900
.long 0x24363682
.long 0xD100001B, 0x0162371D
.long 0x24380082
.long 0xD1FE001A, 0x02060103
.long 0xD100001A, 0x0162351D
.long 0xD3D8400E, 0x18000100
.long 0xD3D8400F, 0x18000104
.long 0xD3D84014, 0x18000101
.long 0xD3D84015, 0x18000105
.long 0xD3D84018, 0x18000102
.long 0xD3D84019, 0x18000106
.long 0xD3D8401E, 0x18000103
	;; [unrolled: 1-line block ×3, first 2 shown]
.long 0xBF800001
.long 0xBF800000
.long 0x0A1C1C30
.long 0x0A1E1E30
.long 0x0A282830
.long 0x0A2A2A30
.long 0x0A303030
.long 0x0A323230
.long 0x0A3C3C30
.long 0x0A3E3E30
.long 0xBF8C0000
.long 0xD0CC0038, 0x0001004A
.long 0xD100000C, 0x00E218F2
.long 0xD100000D, 0x00E21AF2
.long 0xD3B1400E, 0x18021D0C
.long 0xD3B2400E, 0x18021D0A
.long 0x0A1C1C3E
.long 0x0A1C1CFF, 0x4038AA3B
.long 0x7E1C410E
.long 0xBF800000
.long 0x021C1CF2
.long 0x7E1C450E
.long 0xBF800000
.long 0xD1CB000E, 0x03CA1CF5
.long 0x0A1C1C3F
.long 0x0A1E1E3E
.long 0x0A1E1EFF, 0x4038AA3B
.long 0x7E1E410F
.long 0xBF800000
.long 0x021E1EF2
.long 0x7E1E450F
.long 0xBF800000
.long 0xD1CB000F, 0x03CA1EF5
.long 0x0A1E1E3F
.long 0x7E1C150E
.long 0x7E1E150F
.long 0xD2A0000E, 0x00021F0E
.long 0xE070D000, 0x80030E07
.long 0xBF800000
.long 0xD0CC0038, 0x0001004A
.long 0xD100000C, 0x00E218F2
.long 0xD100000D, 0x00E21AF2
.long 0xD3B14014, 0x1802290C
.long 0xD3B24014, 0x1802290A
.long 0x0A28283E
.long 0x0A2828FF, 0x4038AA3B
.long 0x7E284114
.long 0xBF800000
.long 0x022828F2
.long 0x7E284514
.long 0xBF800000
.long 0xD1CB0014, 0x03CA28F5
.long 0x0A28283F
.long 0x0A2A2A3E
.long 0x0A2A2AFF, 0x4038AA3B
.long 0x7E2A4115
.long 0xBF800000
.long 0x022A2AF2
.long 0x7E2A4515
.long 0xBF800000
.long 0xD1CB0015, 0x03CA2AF5
.long 0x0A2A2A3F
.long 0x7E281514
.long 0x7E2A1515
.long 0xD2A00014, 0x00022B14
.long 0xE070D000, 0x80031410
.long 0xBF800000
	;; [unrolled: 28-line block ×4, first 2 shown]
.long 0xBF800000
.long 0xBF820146
.long 0x7E3A02FF, 0x80000000
.long 0xD0C90054, 0x00003900
	;; [unrolled: 1-line block ×3, first 2 shown]
.long 0x86D85854
.long 0x925402FF, 0x00000080
.long 0xD1350008, 0x0000A900
.long 0x24101082
.long 0xD1000008, 0x0162111D
.long 0xBF8CC07F
.long 0xBF8A0000
.long 0xD8EC0000, 0x0A000008
.long 0x24120082
.long 0xE0541000, 0x80120C09
.long 0xD1FE0007, 0x02060103
	;; [unrolled: 1-line block ×8, first 2 shown]
.long 0x86D85854
.long 0x925402FF, 0x00000080
.long 0xD1350011, 0x0000A900
.long 0x24222282
.long 0xD1000011, 0x0162231D
.long 0x24240082
.long 0xD1FE0010, 0x02060103
.long 0xD1000010, 0x0162211D
.long 0xD1196A01, 0x00010301
.long 0xD1340002, 0x00005502
.long 0xD1340003, 0x00005103
.long 0xD0C90054, 0x00003900
.long 0xD0C90058, 0x00003B01
.long 0x86D85854
.long 0x925402FF, 0x00000080
.long 0xD1350016, 0x0000A900
.long 0x242C2C82
.long 0xD1000016, 0x01622D1D
.long 0x242E0082
.long 0xD1FE0013, 0x02060103
.long 0xD1000013, 0x0162271D
.long 0xD1196A01, 0x00010301
.long 0xD1340002, 0x00005502
.long 0xD1340003, 0x00005103
.long 0xD0C90054, 0x00003900
.long 0xD0C90058, 0x00003B01
	;; [unrolled: 13-line block ×3, first 2 shown]
.long 0xD3D84019, 0x18000106
.long 0xD3D8401E, 0x18000103
	;; [unrolled: 1-line block ×3, first 2 shown]
.long 0xBF800001
.long 0xBF800000
	;; [unrolled: 1-line block ×11, first 2 shown]
.long 0xD0CC0038, 0x0001004A
.long 0xD100000C, 0x00E218F2
.long 0xD100000D, 0x00E21AF2
.long 0xD3B1400E, 0x18021D0C
.long 0xD3B2400E, 0x18021D0A
.long 0x0A081CFF, 0x3D372713
.long 0xD1CB0004, 0x03CA090E
.long 0x0A08090E
.long 0x0A0808FF, 0x40135761
.long 0x7E084104
.long 0xBF800000
.long 0x020808F2
.long 0x7E084504
.long 0xBF800000
.long 0xD1CB0004, 0x03D208F5
.long 0x0A08090E
.long 0x0A0808F0
.long 0x0A1C083E
.long 0x0A081EFF, 0x3D372713
.long 0xD1CB0004, 0x03CA090F
.long 0x0A08090F
.long 0x0A0808FF, 0x40135761
.long 0x7E084104
.long 0xBF800000
.long 0x020808F2
.long 0x7E084504
.long 0xBF800000
.long 0xD1CB0004, 0x03D208F5
.long 0x0A08090F
.long 0x0A0808F0
.long 0x0A1E083E
.long 0x7E1C150E
.long 0x7E1E150F
.long 0xD2A0000E, 0x00021F0E
.long 0xE070D000, 0x80030E07
.long 0xBF800000
.long 0xD0CC0038, 0x0001004A
.long 0xD100000C, 0x00E218F2
.long 0xD100000D, 0x00E21AF2
.long 0xD3B14014, 0x1802290C
.long 0xD3B24014, 0x1802290A
.long 0x0A0828FF, 0x3D372713
.long 0xD1CB0004, 0x03CA0914
.long 0x0A080914
.long 0x0A0808FF, 0x40135761
.long 0x7E084104
.long 0xBF800000
.long 0x020808F2
.long 0x7E084504
.long 0xBF800000
.long 0xD1CB0004, 0x03D208F5
.long 0x0A080914
.long 0x0A0808F0
.long 0x0A28083E
.long 0x0A082AFF, 0x3D372713
.long 0xD1CB0004, 0x03CA0915
.long 0x0A080915
.long 0x0A0808FF, 0x40135761
.long 0x7E084104
.long 0xBF800000
.long 0x020808F2
.long 0x7E084504
.long 0xBF800000
.long 0xD1CB0004, 0x03D208F5
.long 0x0A080915
.long 0x0A0808F0
.long 0x0A2A083E
.long 0x7E281514
.long 0x7E2A1515
.long 0xD2A00014, 0x00022B14
.long 0xE070D000, 0x80031410
.long 0xBF800000
	;; [unrolled: 36-line block ×4, first 2 shown]
.long 0xBF800000
.long 0xBF8211CE
.long 0x86541CFF, 0x0000007F
.long 0x805514C1
.long 0xBF095502
	;; [unrolled: 1-line block ×29, first 2 shown]
.long 0xD1FE0008, 0x02060102
.long 0xE0501000, 0x80040B08
	;; [unrolled: 1-line block ×4, first 2 shown]
.long 0x24121282
.long 0xBF8CC07F
	;; [unrolled: 1-line block ×3, first 2 shown]
.long 0xD8EC0000, 0x0C000009
.long 0x24140082
.long 0xE0541000, 0x80120E0A
.long 0x8E42812A
.long 0x80104210
.long 0x82118011
.long 0xE0501000, 0x80041208
.long 0x8E42812A
.long 0x80104210
	;; [unrolled: 4-line block ×3, first 2 shown]
.long 0x82118011
.long 0xE0501000, 0x80041808
.long 0xD1FE0007, 0x02060103
	;; [unrolled: 1-line block ×10, first 2 shown]
.long 0xBF800001
.long 0xBF800000
.long 0x0A202030
.long 0x0A222230
.long 0x0A282830
.long 0x0A2A2A30
.long 0x0A2C2C30
.long 0x0A2E2E30
.long 0x0A343430
.long 0x0A363630
.long 0xBF8C0073
.long 0xD0CC0038, 0x0001004A
.long 0xD100000E, 0x00E21CF2
	;; [unrolled: 1-line block ×7, first 2 shown]
.long 0x7E201510
.long 0x7E221511
.long 0xD2A00010, 0x00022310
.long 0xE070D000, 0x80031007
.long 0xBF800000
.long 0xBF8C0F73
.long 0xD0CC0038, 0x0001004A
.long 0xD100000E, 0x00E21CF2
.long 0xD100000F, 0x00E21EF2
.long 0xD3B14014, 0x1802290E
.long 0xD3A00014, 0x14522431
.long 0xD3A01015, 0x14562431
.long 0xD3B24014, 0x1802290C
.long 0x7E281514
.long 0x7E2A1515
.long 0xD2A00014, 0x00022B14
.long 0x8E428128
.long 0x800C420C
.long 0x820D800D
.long 0xE070D000, 0x80031407
.long 0xBF800000
.long 0xBF8C0F73
.long 0xD0CC0038, 0x0001004A
.long 0xD100000E, 0x00E21CF2
.long 0xD100000F, 0x00E21EF2
.long 0xD3B14016, 0x18022D0E
.long 0xD3A00016, 0x145A2631
.long 0xD3A01017, 0x145E2631
.long 0xD3B24016, 0x18022D0C
.long 0x7E2C1516
.long 0x7E2E1517
.long 0xD2A00016, 0x00022F16
.long 0x8E428128
.long 0x800C420C
.long 0x820D800D
	;; [unrolled: 16-line block ×3, first 2 shown]
.long 0xE070D000, 0x80031A07
.long 0xBF800000
.long 0xBF800000
	;; [unrolled: 1-line block ×3, first 2 shown]
.long 0xD1FE0008, 0x02060102
.long 0xE0501000, 0x80040B08
	;; [unrolled: 1-line block ×4, first 2 shown]
.long 0x24121282
.long 0xBF8CC07F
	;; [unrolled: 1-line block ×3, first 2 shown]
.long 0xD8EC0000, 0x0C000009
.long 0x24140082
.long 0xE0541000, 0x80120E0A
.long 0x8E42812A
.long 0x80104210
.long 0x82118011
.long 0xE0501000, 0x80041208
.long 0x8E42812A
.long 0x80104210
	;; [unrolled: 4-line block ×3, first 2 shown]
.long 0x82118011
.long 0xE0501000, 0x80041808
.long 0xD1FE0007, 0x02060103
.long 0xD3D84010, 0x18000100
.long 0xD3D84011, 0x18000104
.long 0xD3D84014, 0x18000101
.long 0xD3D84015, 0x18000105
.long 0xD3D84016, 0x18000102
.long 0xD3D84017, 0x18000106
.long 0xD3D8401A, 0x18000103
.long 0xD3D8401B, 0x18000107
.long 0xBF800001
.long 0xBF800000
	;; [unrolled: 1-line block ×11, first 2 shown]
.long 0xD0CC0038, 0x0001004A
.long 0xD100000E, 0x00E21CF2
	;; [unrolled: 1-line block ×9, first 2 shown]
.long 0x7E201510
.long 0x7E221511
.long 0xD2A00010, 0x00022310
.long 0xE070D000, 0x80031007
.long 0xBF800000
.long 0xBF8C0F73
.long 0xD0CC0038, 0x0001004A
.long 0xD100000E, 0x00E21CF2
.long 0xD100000F, 0x00E21EF2
.long 0xD3B14014, 0x1802290E
.long 0xD3A00014, 0x14522431
.long 0xD3A01015, 0x14562431
.long 0xD3B24014, 0x1802290C
.long 0x262828FF, 0x7FFFFFFF
.long 0x262A2AFF, 0x7FFFFFFF
.long 0x7E281514
.long 0x7E2A1515
.long 0xD2A00014, 0x00022B14
.long 0x8E428128
.long 0x800C420C
.long 0x820D800D
.long 0xE070D000, 0x80031407
.long 0xBF800000
.long 0xBF8C0F73
.long 0xD0CC0038, 0x0001004A
.long 0xD100000E, 0x00E21CF2
.long 0xD100000F, 0x00E21EF2
.long 0xD3B14016, 0x18022D0E
.long 0xD3A00016, 0x145A2631
.long 0xD3A01017, 0x145E2631
.long 0xD3B24016, 0x18022D0C
.long 0x262C2CFF, 0x7FFFFFFF
.long 0x262E2EFF, 0x7FFFFFFF
.long 0x7E2C1516
.long 0x7E2E1517
.long 0xD2A00016, 0x00022F16
.long 0x8E428128
.long 0x800C420C
.long 0x820D800D
	;; [unrolled: 18-line block ×3, first 2 shown]
.long 0xE070D000, 0x80031A07
.long 0xBF800000
.long 0xBF800000
	;; [unrolled: 1-line block ×3, first 2 shown]
.long 0xD1FE0008, 0x02060102
.long 0xE0501000, 0x80040B08
	;; [unrolled: 1-line block ×4, first 2 shown]
.long 0x24121282
.long 0xBF8CC07F
	;; [unrolled: 1-line block ×3, first 2 shown]
.long 0xD8EC0000, 0x0C000009
.long 0x24140082
.long 0xE0541000, 0x80120E0A
.long 0x8E42812A
.long 0x80104210
.long 0x82118011
.long 0xE0501000, 0x80041208
.long 0x8E42812A
.long 0x80104210
	;; [unrolled: 4-line block ×3, first 2 shown]
.long 0x82118011
.long 0xE0501000, 0x80041808
.long 0xD1FE0007, 0x02060103
	;; [unrolled: 1-line block ×10, first 2 shown]
.long 0xBF800001
.long 0xBF800000
	;; [unrolled: 1-line block ×11, first 2 shown]
.long 0xD0CC0038, 0x0001004A
.long 0xD100000E, 0x00E21CF2
	;; [unrolled: 1-line block ×8, first 2 shown]
.long 0x1420203F
.long 0x00202080
.long 0xD044006A, 0x00007D11
.long 0x1422223F
.long 0x00222280
	;; [unrolled: 1-line block ×4, first 2 shown]
.long 0xD2A00010, 0x00022310
.long 0xE070D000, 0x80031007
.long 0xBF800000
.long 0xBF8C0F73
.long 0xD0CC0038, 0x0001004A
.long 0xD100000E, 0x00E21CF2
.long 0xD100000F, 0x00E21EF2
.long 0xD3B14014, 0x1802290E
.long 0xD3A00014, 0x14522431
.long 0xD3A01015, 0x14562431
.long 0xD3B24014, 0x1802290C
.long 0xD044006A, 0x00007D14
.long 0x1428283F
.long 0x00282880
.long 0xD044006A, 0x00007D15
.long 0x142A2A3F
.long 0x002A2A80
.long 0x7E281514
.long 0x7E2A1515
.long 0xD2A00014, 0x00022B14
.long 0x8E428128
.long 0x800C420C
.long 0x820D800D
.long 0xE070D000, 0x80031407
.long 0xBF800000
.long 0xBF8C0F73
.long 0xD0CC0038, 0x0001004A
.long 0xD100000E, 0x00E21CF2
.long 0xD100000F, 0x00E21EF2
.long 0xD3B14016, 0x18022D0E
.long 0xD3A00016, 0x145A2631
.long 0xD3A01017, 0x145E2631
.long 0xD3B24016, 0x18022D0C
.long 0xD044006A, 0x00007D16
.long 0x142C2C3F
.long 0x002C2C80
.long 0xD044006A, 0x00007D17
.long 0x142E2E3F
.long 0x002E2E80
.long 0x7E2C1516
.long 0x7E2E1517
.long 0xD2A00016, 0x00022F16
.long 0x8E428128
.long 0x800C420C
.long 0x820D800D
	;; [unrolled: 22-line block ×3, first 2 shown]
.long 0xE070D000, 0x80031A07
.long 0xBF800000
.long 0xBF800000
	;; [unrolled: 1-line block ×3, first 2 shown]
.long 0xD1FE0008, 0x02060102
.long 0xE0501000, 0x80040B08
	;; [unrolled: 1-line block ×4, first 2 shown]
.long 0x24121282
.long 0xBF8CC07F
	;; [unrolled: 1-line block ×3, first 2 shown]
.long 0xD8EC0000, 0x0C000009
.long 0x24140082
.long 0xE0541000, 0x80120E0A
.long 0x8E42812A
.long 0x80104210
.long 0x82118011
.long 0xE0501000, 0x80041208
.long 0x8E42812A
.long 0x80104210
	;; [unrolled: 4-line block ×3, first 2 shown]
.long 0x82118011
.long 0xE0501000, 0x80041808
.long 0xD1FE0007, 0x02060103
	;; [unrolled: 1-line block ×10, first 2 shown]
.long 0xBF800001
.long 0xBF800000
	;; [unrolled: 1-line block ×11, first 2 shown]
.long 0xD0CC0038, 0x0001004A
.long 0xD100000E, 0x00E21CF2
	;; [unrolled: 1-line block ×9, first 2 shown]
.long 0x0A080910
.long 0x0A0808FF, 0x40135761
.long 0x7E084104
.long 0xBF800000
	;; [unrolled: 1-line block ×5, first 2 shown]
.long 0xD1CB0004, 0x03D208F5
.long 0x0A080910
.long 0x0A2008F0
.long 0x0A0822FF, 0x3D372713
.long 0xD1CB0004, 0x03CA0911
.long 0x0A080911
.long 0x0A0808FF, 0x40135761
.long 0x7E084104
.long 0xBF800000
	;; [unrolled: 1-line block ×5, first 2 shown]
.long 0xD1CB0004, 0x03D208F5
.long 0x0A080911
.long 0x0A2208F0
	;; [unrolled: 1-line block ×4, first 2 shown]
.long 0xD2A00010, 0x00022310
.long 0xE070D000, 0x80031007
.long 0xBF800000
.long 0xBF8C0F73
.long 0xD0CC0038, 0x0001004A
.long 0xD100000E, 0x00E21CF2
.long 0xD100000F, 0x00E21EF2
.long 0xD3B14014, 0x1802290E
.long 0xD3A00014, 0x14522431
.long 0xD3A01015, 0x14562431
.long 0xD3B24014, 0x1802290C
.long 0x0A0828FF, 0x3D372713
.long 0xD1CB0004, 0x03CA0914
.long 0x0A080914
.long 0x0A0808FF, 0x40135761
.long 0x7E084104
.long 0xBF800000
.long 0x020808F2
.long 0x7E084504
.long 0xBF800000
.long 0xD1CB0004, 0x03D208F5
.long 0x0A080914
.long 0x0A2808F0
.long 0x0A082AFF, 0x3D372713
.long 0xD1CB0004, 0x03CA0915
.long 0x0A080915
.long 0x0A0808FF, 0x40135761
.long 0x7E084104
.long 0xBF800000
.long 0x020808F2
.long 0x7E084504
.long 0xBF800000
.long 0xD1CB0004, 0x03D208F5
.long 0x0A080915
.long 0x0A2A08F0
.long 0x7E281514
.long 0x7E2A1515
.long 0xD2A00014, 0x00022B14
.long 0x8E428128
.long 0x800C420C
.long 0x820D800D
.long 0xE070D000, 0x80031407
.long 0xBF800000
.long 0xBF8C0F73
.long 0xD0CC0038, 0x0001004A
.long 0xD100000E, 0x00E21CF2
.long 0xD100000F, 0x00E21EF2
.long 0xD3B14016, 0x18022D0E
.long 0xD3A00016, 0x145A2631
.long 0xD3A01017, 0x145E2631
.long 0xD3B24016, 0x18022D0C
.long 0x0A082CFF, 0x3D372713
.long 0xD1CB0004, 0x03CA0916
.long 0x0A080916
.long 0x0A0808FF, 0x40135761
.long 0x7E084104
.long 0xBF800000
.long 0x020808F2
.long 0x7E084504
.long 0xBF800000
.long 0xD1CB0004, 0x03D208F5
.long 0x0A080916
.long 0x0A2C08F0
.long 0x0A082EFF, 0x3D372713
.long 0xD1CB0004, 0x03CA0917
.long 0x0A080917
.long 0x0A0808FF, 0x40135761
.long 0x7E084104
.long 0xBF800000
.long 0x020808F2
.long 0x7E084504
.long 0xBF800000
.long 0xD1CB0004, 0x03D208F5
.long 0x0A080917
.long 0x0A2E08F0
.long 0x7E2C1516
.long 0x7E2E1517
.long 0xD2A00016, 0x00022F16
.long 0x8E428128
.long 0x800C420C
.long 0x820D800D
	;; [unrolled: 40-line block ×3, first 2 shown]
.long 0xE070D000, 0x80031A07
.long 0xBF800000
.long 0xBF800000
	;; [unrolled: 1-line block ×3, first 2 shown]
.long 0xD1FE0008, 0x02060102
.long 0xE0501000, 0x80040B08
	;; [unrolled: 1-line block ×4, first 2 shown]
.long 0x24121282
.long 0xBF8CC07F
	;; [unrolled: 1-line block ×3, first 2 shown]
.long 0xD8EC0000, 0x0C000009
.long 0x24140082
.long 0xE0541000, 0x80120E0A
.long 0x8E42812A
.long 0x80104210
.long 0x82118011
.long 0xE0501000, 0x80041208
.long 0x8E42812A
.long 0x80104210
	;; [unrolled: 4-line block ×3, first 2 shown]
.long 0x82118011
.long 0xE0501000, 0x80041808
.long 0xD1FE0007, 0x02060103
	;; [unrolled: 1-line block ×10, first 2 shown]
.long 0xBF800001
.long 0xBF800000
	;; [unrolled: 1-line block ×11, first 2 shown]
.long 0xD0CC0038, 0x0001004A
.long 0xD100000E, 0x00E21CF2
	;; [unrolled: 1-line block ×7, first 2 shown]
.long 0x0A08203E
.long 0xD046006A, 0x00010110
.long 0x00202104
.long 0x0A08223E
.long 0xD046006A, 0x00010111
.long 0x00222304
.long 0x7E201510
	;; [unrolled: 1-line block ×3, first 2 shown]
.long 0xD2A00010, 0x00022310
.long 0xE070D000, 0x80031007
.long 0xBF800000
.long 0xBF8C0F73
.long 0xD0CC0038, 0x0001004A
.long 0xD100000E, 0x00E21CF2
.long 0xD100000F, 0x00E21EF2
.long 0xD3B14014, 0x1802290E
.long 0xD3A00014, 0x14522431
.long 0xD3A01015, 0x14562431
.long 0xD3B24014, 0x1802290C
.long 0x0A08283E
.long 0xD046006A, 0x00010114
.long 0x00282904
.long 0x0A082A3E
.long 0xD046006A, 0x00010115
.long 0x002A2B04
.long 0x7E281514
.long 0x7E2A1515
.long 0xD2A00014, 0x00022B14
.long 0x8E428128
.long 0x800C420C
.long 0x820D800D
.long 0xE070D000, 0x80031407
.long 0xBF800000
.long 0xBF8C0F73
.long 0xD0CC0038, 0x0001004A
.long 0xD100000E, 0x00E21CF2
.long 0xD100000F, 0x00E21EF2
.long 0xD3B14016, 0x18022D0E
.long 0xD3A00016, 0x145A2631
.long 0xD3A01017, 0x145E2631
.long 0xD3B24016, 0x18022D0C
.long 0x0A082C3E
.long 0xD046006A, 0x00010116
.long 0x002C2D04
.long 0x0A082E3E
.long 0xD046006A, 0x00010117
.long 0x002E2F04
.long 0x7E2C1516
.long 0x7E2E1517
.long 0xD2A00016, 0x00022F16
.long 0x8E428128
.long 0x800C420C
.long 0x820D800D
	;; [unrolled: 22-line block ×3, first 2 shown]
.long 0xE070D000, 0x80031A07
.long 0xBF800000
.long 0xBF800000
	;; [unrolled: 1-line block ×3, first 2 shown]
.long 0xD1FE0008, 0x02060102
.long 0xE0501000, 0x80040B08
	;; [unrolled: 1-line block ×4, first 2 shown]
.long 0x24121282
.long 0xBF8CC07F
	;; [unrolled: 1-line block ×3, first 2 shown]
.long 0xD8EC0000, 0x0C000009
.long 0x24140082
.long 0xE0541000, 0x80120E0A
.long 0x8E42812A
.long 0x80104210
.long 0x82118011
.long 0xE0501000, 0x80041208
.long 0x8E42812A
.long 0x80104210
	;; [unrolled: 4-line block ×3, first 2 shown]
.long 0x82118011
.long 0xE0501000, 0x80041808
.long 0xD1FE0007, 0x02060103
	;; [unrolled: 1-line block ×10, first 2 shown]
.long 0xBF800001
.long 0xBF800000
	;; [unrolled: 1-line block ×11, first 2 shown]
.long 0xD0CC0038, 0x0001004A
.long 0xD100000E, 0x00E21CF2
	;; [unrolled: 1-line block ×9, first 2 shown]
.long 0x7E201510
.long 0x7E221511
.long 0xD2A00010, 0x00022310
.long 0xE070D000, 0x80031007
.long 0xBF800000
.long 0xBF8C0F73
.long 0xD0CC0038, 0x0001004A
.long 0xD100000E, 0x00E21CF2
.long 0xD100000F, 0x00E21EF2
.long 0xD3B14014, 0x1802290E
.long 0xD3A00014, 0x14522431
.long 0xD3A01015, 0x14562431
.long 0xD3B24014, 0x1802290C
.long 0xD10B0014, 0x00010114
.long 0xD10B0015, 0x00010115
.long 0x7E281514
.long 0x7E2A1515
.long 0xD2A00014, 0x00022B14
.long 0x8E428128
.long 0x800C420C
.long 0x820D800D
.long 0xE070D000, 0x80031407
.long 0xBF800000
.long 0xBF8C0F73
.long 0xD0CC0038, 0x0001004A
.long 0xD100000E, 0x00E21CF2
.long 0xD100000F, 0x00E21EF2
.long 0xD3B14016, 0x18022D0E
.long 0xD3A00016, 0x145A2631
.long 0xD3A01017, 0x145E2631
.long 0xD3B24016, 0x18022D0C
.long 0xD10B0016, 0x00010116
.long 0xD10B0017, 0x00010117
.long 0x7E2C1516
.long 0x7E2E1517
.long 0xD2A00016, 0x00022F16
.long 0x8E428128
.long 0x800C420C
.long 0x820D800D
	;; [unrolled: 18-line block ×3, first 2 shown]
.long 0xE070D000, 0x80031A07
.long 0xBF800000
.long 0xBF800000
.long 0xBF8202F1
.long 0xD1FE0008, 0x02060102
.long 0xE0501000, 0x80040B08
.long 0x924202FF, 0x00000080
.long 0xD1350009, 0x00008500
.long 0x24121282
.long 0xBF8CC07F
	;; [unrolled: 1-line block ×3, first 2 shown]
.long 0xD8EC0000, 0x0C000009
.long 0x24140082
.long 0xE0541000, 0x80120E0A
.long 0x8E42812A
.long 0x80104210
.long 0x82118011
.long 0xE0501000, 0x80041208
.long 0x8E42812A
.long 0x80104210
	;; [unrolled: 4-line block ×3, first 2 shown]
.long 0x82118011
.long 0xE0501000, 0x80041808
.long 0xD1FE0007, 0x02060103
	;; [unrolled: 1-line block ×10, first 2 shown]
.long 0xBF800001
.long 0xBF800000
	;; [unrolled: 1-line block ×11, first 2 shown]
.long 0xD0CC0038, 0x0001004A
.long 0xD100000E, 0x00E21CF2
	;; [unrolled: 1-line block ×8, first 2 shown]
.long 0x7E204110
.long 0xBF800000
	;; [unrolled: 1-line block ×5, first 2 shown]
.long 0x0A2222FF, 0xBFB8AA3B
.long 0x7E224111
.long 0xBF800000
.long 0x022222F2
.long 0x7E224511
.long 0xBF800000
.long 0x7E201510
.long 0x7E221511
.long 0xD2A00010, 0x00022310
.long 0xE070D000, 0x80031007
.long 0xBF800000
.long 0xBF8C0F73
.long 0xD0CC0038, 0x0001004A
.long 0xD100000E, 0x00E21CF2
.long 0xD100000F, 0x00E21EF2
.long 0xD3B14014, 0x1802290E
.long 0xD3A00014, 0x14522431
.long 0xD3A01015, 0x14562431
.long 0xD3B24014, 0x1802290C
.long 0x0A2828FF, 0xBFB8AA3B
.long 0x7E284114
.long 0xBF800000
.long 0x022828F2
.long 0x7E284514
.long 0xBF800000
.long 0x0A2A2AFF, 0xBFB8AA3B
.long 0x7E2A4115
.long 0xBF800000
.long 0x022A2AF2
.long 0x7E2A4515
.long 0xBF800000
.long 0x7E281514
.long 0x7E2A1515
.long 0xD2A00014, 0x00022B14
.long 0x8E428128
.long 0x800C420C
.long 0x820D800D
.long 0xE070D000, 0x80031407
.long 0xBF800000
.long 0xBF8C0F73
.long 0xD0CC0038, 0x0001004A
.long 0xD100000E, 0x00E21CF2
.long 0xD100000F, 0x00E21EF2
.long 0xD3B14016, 0x18022D0E
.long 0xD3A00016, 0x145A2631
.long 0xD3A01017, 0x145E2631
.long 0xD3B24016, 0x18022D0C
.long 0x0A2C2CFF, 0xBFB8AA3B
.long 0x7E2C4116
.long 0xBF800000
.long 0x022C2CF2
.long 0x7E2C4516
.long 0xBF800000
.long 0x0A2E2EFF, 0xBFB8AA3B
.long 0x7E2E4117
.long 0xBF800000
.long 0x022E2EF2
.long 0x7E2E4517
.long 0xBF800000
.long 0x7E2C1516
.long 0x7E2E1517
.long 0xD2A00016, 0x00022F16
.long 0x8E428128
.long 0x800C420C
.long 0x820D800D
	;; [unrolled: 28-line block ×3, first 2 shown]
.long 0xE070D000, 0x80031A07
.long 0xBF800000
.long 0xBF800000
	;; [unrolled: 1-line block ×3, first 2 shown]
.long 0xD1FE0008, 0x02060102
.long 0xE0501000, 0x80040B08
	;; [unrolled: 1-line block ×4, first 2 shown]
.long 0x24121282
.long 0xBF8CC07F
	;; [unrolled: 1-line block ×3, first 2 shown]
.long 0xD8EC0000, 0x0C000009
.long 0x24140082
.long 0xE0541000, 0x80120E0A
.long 0x8E42812A
.long 0x80104210
.long 0x82118011
.long 0xE0501000, 0x80041208
.long 0x8E42812A
.long 0x80104210
	;; [unrolled: 4-line block ×3, first 2 shown]
.long 0x82118011
.long 0xE0501000, 0x80041808
.long 0xD1FE0007, 0x02060103
	;; [unrolled: 1-line block ×10, first 2 shown]
.long 0xBF800001
.long 0xBF800000
	;; [unrolled: 1-line block ×11, first 2 shown]
.long 0xD0CC0038, 0x0001004A
.long 0xD100000E, 0x00E21CF2
	;; [unrolled: 1-line block ×7, first 2 shown]
.long 0x0A20203E
.long 0x0A2020FF, 0x4038AA3B
.long 0x7E204110
.long 0xBF800000
	;; [unrolled: 1-line block ×5, first 2 shown]
.long 0xD1CB0010, 0x03CA20F5
.long 0x0A20203F
.long 0x0A22223E
.long 0x0A2222FF, 0x4038AA3B
.long 0x7E224111
.long 0xBF800000
.long 0x022222F2
.long 0x7E224511
.long 0xBF800000
.long 0xD1CB0011, 0x03CA22F5
.long 0x0A22223F
.long 0x7E201510
	;; [unrolled: 1-line block ×3, first 2 shown]
.long 0xD2A00010, 0x00022310
.long 0xE070D000, 0x80031007
.long 0xBF800000
.long 0xBF8C0F73
.long 0xD0CC0038, 0x0001004A
.long 0xD100000E, 0x00E21CF2
.long 0xD100000F, 0x00E21EF2
.long 0xD3B14014, 0x1802290E
.long 0xD3A00014, 0x14522431
.long 0xD3A01015, 0x14562431
.long 0xD3B24014, 0x1802290C
.long 0x0A28283E
.long 0x0A2828FF, 0x4038AA3B
.long 0x7E284114
.long 0xBF800000
.long 0x022828F2
.long 0x7E284514
.long 0xBF800000
.long 0xD1CB0014, 0x03CA28F5
.long 0x0A28283F
.long 0x0A2A2A3E
.long 0x0A2A2AFF, 0x4038AA3B
.long 0x7E2A4115
.long 0xBF800000
.long 0x022A2AF2
.long 0x7E2A4515
.long 0xBF800000
.long 0xD1CB0015, 0x03CA2AF5
.long 0x0A2A2A3F
.long 0x7E281514
.long 0x7E2A1515
.long 0xD2A00014, 0x00022B14
.long 0x8E428128
.long 0x800C420C
.long 0x820D800D
.long 0xE070D000, 0x80031407
.long 0xBF800000
.long 0xBF8C0F73
.long 0xD0CC0038, 0x0001004A
.long 0xD100000E, 0x00E21CF2
.long 0xD100000F, 0x00E21EF2
.long 0xD3B14016, 0x18022D0E
.long 0xD3A00016, 0x145A2631
.long 0xD3A01017, 0x145E2631
.long 0xD3B24016, 0x18022D0C
.long 0x0A2C2C3E
.long 0x0A2C2CFF, 0x4038AA3B
.long 0x7E2C4116
.long 0xBF800000
.long 0x022C2CF2
.long 0x7E2C4516
.long 0xBF800000
.long 0xD1CB0016, 0x03CA2CF5
.long 0x0A2C2C3F
.long 0x0A2E2E3E
.long 0x0A2E2EFF, 0x4038AA3B
.long 0x7E2E4117
.long 0xBF800000
.long 0x022E2EF2
.long 0x7E2E4517
.long 0xBF800000
.long 0xD1CB0017, 0x03CA2EF5
.long 0x0A2E2E3F
.long 0x7E2C1516
.long 0x7E2E1517
.long 0xD2A00016, 0x00022F16
.long 0x8E428128
.long 0x800C420C
.long 0x820D800D
	;; [unrolled: 34-line block ×3, first 2 shown]
.long 0xE070D000, 0x80031A07
.long 0xBF800000
.long 0xBF800000
	;; [unrolled: 1-line block ×3, first 2 shown]
.long 0xD1FE0008, 0x02060102
.long 0xE0501000, 0x80040B08
	;; [unrolled: 1-line block ×4, first 2 shown]
.long 0x24121282
.long 0xBF8CC07F
	;; [unrolled: 1-line block ×3, first 2 shown]
.long 0xD8EC0000, 0x0C000009
.long 0x24140082
.long 0xE0541000, 0x80120E0A
.long 0x8E42812A
.long 0x80104210
.long 0x82118011
.long 0xE0501000, 0x80041208
.long 0x8E42812A
.long 0x80104210
	;; [unrolled: 4-line block ×3, first 2 shown]
.long 0x82118011
.long 0xE0501000, 0x80041808
.long 0xD1FE0007, 0x02060103
	;; [unrolled: 1-line block ×10, first 2 shown]
.long 0xBF800001
.long 0xBF800000
	;; [unrolled: 1-line block ×11, first 2 shown]
.long 0xD0CC0038, 0x0001004A
.long 0xD100000E, 0x00E21CF2
	;; [unrolled: 1-line block ×9, first 2 shown]
.long 0x0A080910
.long 0x0A0808FF, 0x40135761
.long 0x7E084104
.long 0xBF800000
.long 0x020808F2
.long 0x7E084504
.long 0xBF800000
.long 0xD1CB0004, 0x03D208F5
.long 0x0A080910
.long 0x0A0808F0
	;; [unrolled: 1-line block ×3, first 2 shown]
.long 0x0A0822FF, 0x3D372713
.long 0xD1CB0004, 0x03CA0911
.long 0x0A080911
.long 0x0A0808FF, 0x40135761
.long 0x7E084104
.long 0xBF800000
	;; [unrolled: 1-line block ×5, first 2 shown]
.long 0xD1CB0004, 0x03D208F5
.long 0x0A080911
.long 0x0A0808F0
	;; [unrolled: 1-line block ×5, first 2 shown]
.long 0xD2A00010, 0x00022310
.long 0xE070D000, 0x80031007
.long 0xBF800000
.long 0xBF8C0F73
.long 0xD0CC0038, 0x0001004A
.long 0xD100000E, 0x00E21CF2
.long 0xD100000F, 0x00E21EF2
.long 0xD3B14014, 0x1802290E
.long 0xD3A00014, 0x14522431
.long 0xD3A01015, 0x14562431
.long 0xD3B24014, 0x1802290C
.long 0x0A0828FF, 0x3D372713
.long 0xD1CB0004, 0x03CA0914
.long 0x0A080914
.long 0x0A0808FF, 0x40135761
.long 0x7E084104
.long 0xBF800000
.long 0x020808F2
.long 0x7E084504
.long 0xBF800000
.long 0xD1CB0004, 0x03D208F5
.long 0x0A080914
.long 0x0A0808F0
.long 0x0A28083E
.long 0x0A082AFF, 0x3D372713
.long 0xD1CB0004, 0x03CA0915
.long 0x0A080915
.long 0x0A0808FF, 0x40135761
.long 0x7E084104
.long 0xBF800000
.long 0x020808F2
.long 0x7E084504
.long 0xBF800000
.long 0xD1CB0004, 0x03D208F5
.long 0x0A080915
.long 0x0A0808F0
.long 0x0A2A083E
.long 0x7E281514
.long 0x7E2A1515
.long 0xD2A00014, 0x00022B14
.long 0x8E428128
.long 0x800C420C
.long 0x820D800D
.long 0xE070D000, 0x80031407
.long 0xBF800000
.long 0xBF8C0F73
.long 0xD0CC0038, 0x0001004A
.long 0xD100000E, 0x00E21CF2
.long 0xD100000F, 0x00E21EF2
.long 0xD3B14016, 0x18022D0E
.long 0xD3A00016, 0x145A2631
.long 0xD3A01017, 0x145E2631
.long 0xD3B24016, 0x18022D0C
.long 0x0A082CFF, 0x3D372713
.long 0xD1CB0004, 0x03CA0916
.long 0x0A080916
.long 0x0A0808FF, 0x40135761
.long 0x7E084104
.long 0xBF800000
.long 0x020808F2
.long 0x7E084504
.long 0xBF800000
.long 0xD1CB0004, 0x03D208F5
.long 0x0A080916
.long 0x0A0808F0
.long 0x0A2C083E
.long 0x0A082EFF, 0x3D372713
.long 0xD1CB0004, 0x03CA0917
.long 0x0A080917
.long 0x0A0808FF, 0x40135761
.long 0x7E084104
.long 0xBF800000
.long 0x020808F2
.long 0x7E084504
.long 0xBF800000
.long 0xD1CB0004, 0x03D208F5
.long 0x0A080917
.long 0x0A0808F0
.long 0x0A2E083E
.long 0x7E2C1516
.long 0x7E2E1517
.long 0xD2A00016, 0x00022F16
.long 0x8E428128
.long 0x800C420C
.long 0x820D800D
	;; [unrolled: 42-line block ×3, first 2 shown]
.long 0xE070D000, 0x80031A07
.long 0xBF800000
.long 0xBF800000
	;; [unrolled: 1-line block ×21, first 2 shown]
.long 0x7E4202FF, 0x80000000
.long 0xD0C90054, 0x00003900
	;; [unrolled: 1-line block ×3, first 2 shown]
.long 0x86D85854
.long 0xD1FE0007, 0x02060102
.long 0xD1000007, 0x01620F21
	;; [unrolled: 1-line block ×5, first 2 shown]
.long 0x24101082
.long 0xD1000008, 0x01621121
.long 0xBF8CC07F
.long 0xBF8A0000
.long 0xD8EC0000, 0x0C000008
.long 0x24120082
.long 0xE0541000, 0x80120E09
.long 0xD1FE0007, 0x02060103
	;; [unrolled: 1-line block ×8, first 2 shown]
.long 0x86D85854
.long 0xD1FE000B, 0x02060102
.long 0xD100000B, 0x01621721
.long 0xE0501000, 0x8004140B
.long 0x925402FF, 0x00000080
.long 0xD1350012, 0x0000A900
.long 0x24242482
.long 0xD1000012, 0x01622521
.long 0x24260082
.long 0xD1FE000B, 0x02060103
.long 0xD100000B, 0x01621721
.long 0xD1196A01, 0x00010301
.long 0xD1340002, 0x00005502
.long 0xD1340003, 0x00005103
.long 0xD0C90054, 0x00003900
.long 0xD0C90058, 0x00003B01
.long 0x86D85854
.long 0xD1FE0015, 0x02060102
.long 0xD1000015, 0x01622B21
.long 0xE0501000, 0x80041A15
.long 0x925402FF, 0x00000080
.long 0xD1350018, 0x0000A900
.long 0x24303082
.long 0xD1000018, 0x01623121
.long 0x24320082
.long 0xD1FE0015, 0x02060103
.long 0xD1000015, 0x01622B21
.long 0xD1196A01, 0x00010301
.long 0xD1340002, 0x00005502
.long 0xD1340003, 0x00005103
.long 0xD0C90054, 0x00003900
.long 0xD0C90058, 0x00003B01
.long 0x86D85854
.long 0xD1FE001B, 0x02060102
.long 0xD100001B, 0x01623721
.long 0xE0501000, 0x8004201B
.long 0x925402FF, 0x00000080
.long 0xD135001E, 0x0000A900
.long 0x243C3C82
.long 0xD100001E, 0x01623D21
.long 0x243E0082
.long 0xD1FE001B, 0x02060103
.long 0xD100001B, 0x01623721
.long 0xD3D84010, 0x18000100
.long 0xD3D84011, 0x18000104
.long 0xD3D84016, 0x18000101
.long 0xD3D84017, 0x18000105
.long 0xD3D8401C, 0x18000102
.long 0xD3D8401D, 0x18000106
.long 0xD3D84022, 0x18000103
.long 0xD3D84023, 0x18000107
.long 0xBF800001
.long 0xBF800000
	;; [unrolled: 1-line block ×11, first 2 shown]
.long 0xD0CC0038, 0x0001004A
.long 0xD100000E, 0x00E21CF2
.long 0xD100000F, 0x00E21EF2
.long 0xD3B14010, 0x1802210E
.long 0xD3A00010, 0x14421431
.long 0xD3A01011, 0x14461431
.long 0xD3B24010, 0x1802210C
.long 0x7E201510
.long 0x7E221511
.long 0xD2A00010, 0x00022310
.long 0xE070D000, 0x80031007
.long 0xBF800000
.long 0xD0CC0038, 0x0001004A
.long 0xD100000E, 0x00E21CF2
.long 0xD100000F, 0x00E21EF2
.long 0xD3B14016, 0x18022D0E
.long 0xD3A00016, 0x145A2831
.long 0xD3A01017, 0x145E2831
.long 0xD3B24016, 0x18022D0C
.long 0x7E2C1516
.long 0x7E2E1517
.long 0xD2A00016, 0x00022F16
.long 0xE070D000, 0x8003160B
.long 0xBF800000
	;; [unrolled: 12-line block ×4, first 2 shown]
.long 0xBF800000
.long 0xBF82092F
.long 0x7E4202FF, 0x80000000
.long 0xD0C90054, 0x00003900
	;; [unrolled: 1-line block ×3, first 2 shown]
.long 0x86D85854
.long 0xD1FE0007, 0x02060102
.long 0xD1000007, 0x01620F21
	;; [unrolled: 1-line block ×5, first 2 shown]
.long 0x24101082
.long 0xD1000008, 0x01621121
.long 0xBF8CC07F
.long 0xBF8A0000
.long 0xD8EC0000, 0x0C000008
.long 0x24120082
.long 0xE0541000, 0x80120E09
.long 0xD1FE0007, 0x02060103
	;; [unrolled: 1-line block ×8, first 2 shown]
.long 0x86D85854
.long 0xD1FE000B, 0x02060102
.long 0xD100000B, 0x01621721
.long 0xE0501000, 0x8004140B
.long 0x925402FF, 0x00000080
.long 0xD1350012, 0x0000A900
.long 0x24242482
.long 0xD1000012, 0x01622521
.long 0x24260082
.long 0xD1FE000B, 0x02060103
.long 0xD100000B, 0x01621721
.long 0xD1196A01, 0x00010301
.long 0xD1340002, 0x00005502
.long 0xD1340003, 0x00005103
.long 0xD0C90054, 0x00003900
.long 0xD0C90058, 0x00003B01
.long 0x86D85854
.long 0xD1FE0015, 0x02060102
.long 0xD1000015, 0x01622B21
.long 0xE0501000, 0x80041A15
.long 0x925402FF, 0x00000080
.long 0xD1350018, 0x0000A900
.long 0x24303082
.long 0xD1000018, 0x01623121
.long 0x24320082
.long 0xD1FE0015, 0x02060103
.long 0xD1000015, 0x01622B21
.long 0xD1196A01, 0x00010301
.long 0xD1340002, 0x00005502
.long 0xD1340003, 0x00005103
.long 0xD0C90054, 0x00003900
.long 0xD0C90058, 0x00003B01
	;; [unrolled: 16-line block ×3, first 2 shown]
.long 0xD3D8401D, 0x18000106
.long 0xD3D84022, 0x18000103
	;; [unrolled: 1-line block ×3, first 2 shown]
.long 0xBF800001
.long 0xBF800000
	;; [unrolled: 1-line block ×11, first 2 shown]
.long 0xD0CC0038, 0x0001004A
.long 0xD100000E, 0x00E21CF2
.long 0xD100000F, 0x00E21EF2
.long 0xD3B14010, 0x1802210E
.long 0xD3A00010, 0x14421431
.long 0xD3A01011, 0x14461431
.long 0xD3B24010, 0x1802210C
.long 0x262020FF, 0x7FFFFFFF
.long 0x262222FF, 0x7FFFFFFF
.long 0x7E201510
.long 0x7E221511
.long 0xD2A00010, 0x00022310
.long 0xE070D000, 0x80031007
.long 0xBF800000
.long 0xD0CC0038, 0x0001004A
.long 0xD100000E, 0x00E21CF2
.long 0xD100000F, 0x00E21EF2
.long 0xD3B14016, 0x18022D0E
.long 0xD3A00016, 0x145A2831
.long 0xD3A01017, 0x145E2831
.long 0xD3B24016, 0x18022D0C
.long 0x262C2CFF, 0x7FFFFFFF
.long 0x262E2EFF, 0x7FFFFFFF
.long 0x7E2C1516
.long 0x7E2E1517
.long 0xD2A00016, 0x00022F16
.long 0xE070D000, 0x8003160B
.long 0xBF800000
.long 0xD0CC0038, 0x0001004A
.long 0xD100000E, 0x00E21CF2
.long 0xD100000F, 0x00E21EF2
.long 0xD3B1401C, 0x1802390E
.long 0xD3A0001C, 0x14723431
.long 0xD3A0101D, 0x14763431
.long 0xD3B2401C, 0x1802390C
.long 0x263838FF, 0x7FFFFFFF
.long 0x263A3AFF, 0x7FFFFFFF
.long 0x7E38151C
.long 0x7E3A151D
.long 0xD2A0001C, 0x00023B1C
.long 0xE070D000, 0x80031C15
.long 0xBF800000
.long 0xD0CC0038, 0x0001004A
.long 0xD100000E, 0x00E21CF2
.long 0xD100000F, 0x00E21EF2
.long 0xD3B14022, 0x1802450E
.long 0xD3A00022, 0x148A4031
.long 0xD3A01023, 0x148E4031
.long 0xD3B24022, 0x1802450C
.long 0x264444FF, 0x7FFFFFFF
.long 0x264646FF, 0x7FFFFFFF
.long 0x7E441522
.long 0x7E461523
.long 0xD2A00022, 0x00024722
.long 0xE070D000, 0x8003221B
.long 0xBF800000
.long 0xBF800000
.long 0xBF820838
.long 0x7E4202FF, 0x80000000
.long 0xD0C90054, 0x00003900
	;; [unrolled: 1-line block ×3, first 2 shown]
.long 0x86D85854
.long 0xD1FE0007, 0x02060102
.long 0xD1000007, 0x01620F21
	;; [unrolled: 1-line block ×5, first 2 shown]
.long 0x24101082
.long 0xD1000008, 0x01621121
.long 0xBF8CC07F
.long 0xBF8A0000
.long 0xD8EC0000, 0x0C000008
.long 0x24120082
.long 0xE0541000, 0x80120E09
.long 0xD1FE0007, 0x02060103
	;; [unrolled: 1-line block ×8, first 2 shown]
.long 0x86D85854
.long 0xD1FE000B, 0x02060102
.long 0xD100000B, 0x01621721
.long 0xE0501000, 0x8004140B
.long 0x925402FF, 0x00000080
.long 0xD1350012, 0x0000A900
.long 0x24242482
.long 0xD1000012, 0x01622521
.long 0x24260082
.long 0xD1FE000B, 0x02060103
.long 0xD100000B, 0x01621721
.long 0xD1196A01, 0x00010301
.long 0xD1340002, 0x00005502
.long 0xD1340003, 0x00005103
.long 0xD0C90054, 0x00003900
.long 0xD0C90058, 0x00003B01
.long 0x86D85854
.long 0xD1FE0015, 0x02060102
.long 0xD1000015, 0x01622B21
.long 0xE0501000, 0x80041A15
.long 0x925402FF, 0x00000080
.long 0xD1350018, 0x0000A900
.long 0x24303082
.long 0xD1000018, 0x01623121
.long 0x24320082
.long 0xD1FE0015, 0x02060103
.long 0xD1000015, 0x01622B21
.long 0xD1196A01, 0x00010301
.long 0xD1340002, 0x00005502
.long 0xD1340003, 0x00005103
.long 0xD0C90054, 0x00003900
.long 0xD0C90058, 0x00003B01
	;; [unrolled: 16-line block ×3, first 2 shown]
.long 0xD3D8401D, 0x18000106
.long 0xD3D84022, 0x18000103
	;; [unrolled: 1-line block ×3, first 2 shown]
.long 0xBF800001
.long 0xBF800000
	;; [unrolled: 1-line block ×11, first 2 shown]
.long 0xD0CC0038, 0x0001004A
.long 0xD100000E, 0x00E21CF2
.long 0xD100000F, 0x00E21EF2
.long 0xD3B14010, 0x1802210E
.long 0xD3A00010, 0x14421431
.long 0xD3A01011, 0x14461431
.long 0xD3B24010, 0x1802210C
.long 0xD044006A, 0x00007D10
.long 0x1420203F
.long 0x00202080
.long 0xD044006A, 0x00007D11
.long 0x1422223F
.long 0x00222280
.long 0x7E201510
.long 0x7E221511
.long 0xD2A00010, 0x00022310
.long 0xE070D000, 0x80031007
.long 0xBF800000
.long 0xD0CC0038, 0x0001004A
.long 0xD100000E, 0x00E21CF2
.long 0xD100000F, 0x00E21EF2
.long 0xD3B14016, 0x18022D0E
.long 0xD3A00016, 0x145A2831
.long 0xD3A01017, 0x145E2831
.long 0xD3B24016, 0x18022D0C
.long 0xD044006A, 0x00007D16
.long 0x142C2C3F
.long 0x002C2C80
.long 0xD044006A, 0x00007D17
.long 0x142E2E3F
.long 0x002E2E80
.long 0x7E2C1516
.long 0x7E2E1517
.long 0xD2A00016, 0x00022F16
.long 0xE070D000, 0x8003160B
.long 0xBF800000
	;; [unrolled: 18-line block ×4, first 2 shown]
.long 0xBF800000
.long 0xBF820731
.long 0x7E4202FF, 0x80000000
.long 0xD0C90054, 0x00003900
	;; [unrolled: 1-line block ×3, first 2 shown]
.long 0x86D85854
.long 0xD1FE0007, 0x02060102
.long 0xD1000007, 0x01620F21
	;; [unrolled: 1-line block ×5, first 2 shown]
.long 0x24101082
.long 0xD1000008, 0x01621121
.long 0xBF8CC07F
.long 0xBF8A0000
.long 0xD8EC0000, 0x0C000008
.long 0x24120082
.long 0xE0541000, 0x80120E09
.long 0xD1FE0007, 0x02060103
	;; [unrolled: 1-line block ×8, first 2 shown]
.long 0x86D85854
.long 0xD1FE000B, 0x02060102
.long 0xD100000B, 0x01621721
.long 0xE0501000, 0x8004140B
.long 0x925402FF, 0x00000080
.long 0xD1350012, 0x0000A900
.long 0x24242482
.long 0xD1000012, 0x01622521
.long 0x24260082
.long 0xD1FE000B, 0x02060103
.long 0xD100000B, 0x01621721
.long 0xD1196A01, 0x00010301
.long 0xD1340002, 0x00005502
.long 0xD1340003, 0x00005103
.long 0xD0C90054, 0x00003900
.long 0xD0C90058, 0x00003B01
.long 0x86D85854
.long 0xD1FE0015, 0x02060102
.long 0xD1000015, 0x01622B21
.long 0xE0501000, 0x80041A15
.long 0x925402FF, 0x00000080
.long 0xD1350018, 0x0000A900
.long 0x24303082
.long 0xD1000018, 0x01623121
.long 0x24320082
.long 0xD1FE0015, 0x02060103
.long 0xD1000015, 0x01622B21
.long 0xD1196A01, 0x00010301
.long 0xD1340002, 0x00005502
.long 0xD1340003, 0x00005103
.long 0xD0C90054, 0x00003900
.long 0xD0C90058, 0x00003B01
	;; [unrolled: 16-line block ×3, first 2 shown]
.long 0xD3D8401D, 0x18000106
.long 0xD3D84022, 0x18000103
	;; [unrolled: 1-line block ×3, first 2 shown]
.long 0xBF800001
.long 0xBF800000
	;; [unrolled: 1-line block ×11, first 2 shown]
.long 0xD0CC0038, 0x0001004A
.long 0xD100000E, 0x00E21CF2
.long 0xD100000F, 0x00E21EF2
.long 0xD3B14010, 0x1802210E
.long 0xD3A00010, 0x14421431
.long 0xD3A01011, 0x14461431
.long 0xD3B24010, 0x1802210C
.long 0x0A0820FF, 0x3D372713
.long 0xD1CB0004, 0x03CA0910
.long 0x0A080910
.long 0x0A0808FF, 0x40135761
.long 0x7E084104
.long 0xBF800000
.long 0x020808F2
.long 0x7E084504
.long 0xBF800000
.long 0xD1CB0004, 0x03D208F5
.long 0x0A080910
.long 0x0A2008F0
.long 0x0A0822FF, 0x3D372713
.long 0xD1CB0004, 0x03CA0911
.long 0x0A080911
.long 0x0A0808FF, 0x40135761
.long 0x7E084104
.long 0xBF800000
.long 0x020808F2
.long 0x7E084504
.long 0xBF800000
.long 0xD1CB0004, 0x03D208F5
.long 0x0A080911
.long 0x0A2208F0
.long 0x7E201510
.long 0x7E221511
.long 0xD2A00010, 0x00022310
.long 0xE070D000, 0x80031007
.long 0xBF800000
.long 0xD0CC0038, 0x0001004A
.long 0xD100000E, 0x00E21CF2
.long 0xD100000F, 0x00E21EF2
.long 0xD3B14016, 0x18022D0E
.long 0xD3A00016, 0x145A2831
.long 0xD3A01017, 0x145E2831
.long 0xD3B24016, 0x18022D0C
.long 0x0A082CFF, 0x3D372713
.long 0xD1CB0004, 0x03CA0916
.long 0x0A080916
.long 0x0A0808FF, 0x40135761
.long 0x7E084104
.long 0xBF800000
.long 0x020808F2
.long 0x7E084504
.long 0xBF800000
.long 0xD1CB0004, 0x03D208F5
.long 0x0A080916
.long 0x0A2C08F0
.long 0x0A082EFF, 0x3D372713
.long 0xD1CB0004, 0x03CA0917
.long 0x0A080917
.long 0x0A0808FF, 0x40135761
.long 0x7E084104
.long 0xBF800000
.long 0x020808F2
.long 0x7E084504
.long 0xBF800000
.long 0xD1CB0004, 0x03D208F5
.long 0x0A080917
.long 0x0A2E08F0
.long 0x7E2C1516
.long 0x7E2E1517
.long 0xD2A00016, 0x00022F16
.long 0xE070D000, 0x8003160B
.long 0xBF800000
	;; [unrolled: 36-line block ×4, first 2 shown]
.long 0xBF800000
.long 0xBF8205CA
.long 0x7E4202FF, 0x80000000
.long 0xD0C90054, 0x00003900
	;; [unrolled: 1-line block ×3, first 2 shown]
.long 0x86D85854
.long 0xD1FE0007, 0x02060102
.long 0xD1000007, 0x01620F21
.long 0xE0501000, 0x80040A07
.long 0x925402FF, 0x00000080
.long 0xD1350008, 0x0000A900
.long 0x24101082
.long 0xD1000008, 0x01621121
.long 0xBF8CC07F
.long 0xBF8A0000
.long 0xD8EC0000, 0x0C000008
.long 0x24120082
.long 0xE0541000, 0x80120E09
.long 0xD1FE0007, 0x02060103
	;; [unrolled: 1-line block ×8, first 2 shown]
.long 0x86D85854
.long 0xD1FE000B, 0x02060102
.long 0xD100000B, 0x01621721
.long 0xE0501000, 0x8004140B
.long 0x925402FF, 0x00000080
.long 0xD1350012, 0x0000A900
.long 0x24242482
.long 0xD1000012, 0x01622521
.long 0x24260082
.long 0xD1FE000B, 0x02060103
.long 0xD100000B, 0x01621721
.long 0xD1196A01, 0x00010301
.long 0xD1340002, 0x00005502
.long 0xD1340003, 0x00005103
.long 0xD0C90054, 0x00003900
.long 0xD0C90058, 0x00003B01
.long 0x86D85854
.long 0xD1FE0015, 0x02060102
.long 0xD1000015, 0x01622B21
.long 0xE0501000, 0x80041A15
.long 0x925402FF, 0x00000080
.long 0xD1350018, 0x0000A900
.long 0x24303082
.long 0xD1000018, 0x01623121
.long 0x24320082
.long 0xD1FE0015, 0x02060103
.long 0xD1000015, 0x01622B21
.long 0xD1196A01, 0x00010301
.long 0xD1340002, 0x00005502
.long 0xD1340003, 0x00005103
.long 0xD0C90054, 0x00003900
.long 0xD0C90058, 0x00003B01
.long 0x86D85854
.long 0xD1FE001B, 0x02060102
.long 0xD100001B, 0x01623721
.long 0xE0501000, 0x8004201B
.long 0x925402FF, 0x00000080
.long 0xD135001E, 0x0000A900
.long 0x243C3C82
.long 0xD100001E, 0x01623D21
.long 0x243E0082
.long 0xD1FE001B, 0x02060103
.long 0xD100001B, 0x01623721
.long 0xD3D84010, 0x18000100
.long 0xD3D84011, 0x18000104
.long 0xD3D84016, 0x18000101
.long 0xD3D84017, 0x18000105
.long 0xD3D8401C, 0x18000102
.long 0xD3D8401D, 0x18000106
.long 0xD3D84022, 0x18000103
	;; [unrolled: 1-line block ×3, first 2 shown]
.long 0xBF800001
.long 0xBF800000
	;; [unrolled: 1-line block ×11, first 2 shown]
.long 0xD0CC0038, 0x0001004A
.long 0xD100000E, 0x00E21CF2
.long 0xD100000F, 0x00E21EF2
.long 0xD3B14010, 0x1802210E
.long 0xD3A00010, 0x14421431
.long 0xD3A01011, 0x14461431
.long 0xD3B24010, 0x1802210C
.long 0x0A08203E
.long 0xD046006A, 0x00010110
.long 0x00202104
.long 0x0A08223E
.long 0xD046006A, 0x00010111
.long 0x00222304
.long 0x7E201510
.long 0x7E221511
.long 0xD2A00010, 0x00022310
.long 0xE070D000, 0x80031007
.long 0xBF800000
.long 0xD0CC0038, 0x0001004A
.long 0xD100000E, 0x00E21CF2
.long 0xD100000F, 0x00E21EF2
.long 0xD3B14016, 0x18022D0E
.long 0xD3A00016, 0x145A2831
.long 0xD3A01017, 0x145E2831
.long 0xD3B24016, 0x18022D0C
.long 0x0A082C3E
.long 0xD046006A, 0x00010116
.long 0x002C2D04
.long 0x0A082E3E
.long 0xD046006A, 0x00010117
.long 0x002E2F04
.long 0x7E2C1516
.long 0x7E2E1517
.long 0xD2A00016, 0x00022F16
.long 0xE070D000, 0x8003160B
.long 0xBF800000
	;; [unrolled: 18-line block ×4, first 2 shown]
.long 0xBF800000
.long 0xBF8204C3
.long 0x7E4202FF, 0x80000000
.long 0xD0C90054, 0x00003900
	;; [unrolled: 1-line block ×3, first 2 shown]
.long 0x86D85854
.long 0xD1FE0007, 0x02060102
.long 0xD1000007, 0x01620F21
	;; [unrolled: 1-line block ×5, first 2 shown]
.long 0x24101082
.long 0xD1000008, 0x01621121
.long 0xBF8CC07F
.long 0xBF8A0000
.long 0xD8EC0000, 0x0C000008
.long 0x24120082
.long 0xE0541000, 0x80120E09
.long 0xD1FE0007, 0x02060103
	;; [unrolled: 1-line block ×8, first 2 shown]
.long 0x86D85854
.long 0xD1FE000B, 0x02060102
.long 0xD100000B, 0x01621721
.long 0xE0501000, 0x8004140B
.long 0x925402FF, 0x00000080
.long 0xD1350012, 0x0000A900
.long 0x24242482
.long 0xD1000012, 0x01622521
.long 0x24260082
.long 0xD1FE000B, 0x02060103
.long 0xD100000B, 0x01621721
.long 0xD1196A01, 0x00010301
.long 0xD1340002, 0x00005502
.long 0xD1340003, 0x00005103
.long 0xD0C90054, 0x00003900
.long 0xD0C90058, 0x00003B01
.long 0x86D85854
.long 0xD1FE0015, 0x02060102
.long 0xD1000015, 0x01622B21
.long 0xE0501000, 0x80041A15
.long 0x925402FF, 0x00000080
.long 0xD1350018, 0x0000A900
.long 0x24303082
.long 0xD1000018, 0x01623121
.long 0x24320082
.long 0xD1FE0015, 0x02060103
.long 0xD1000015, 0x01622B21
.long 0xD1196A01, 0x00010301
.long 0xD1340002, 0x00005502
.long 0xD1340003, 0x00005103
.long 0xD0C90054, 0x00003900
.long 0xD0C90058, 0x00003B01
	;; [unrolled: 16-line block ×3, first 2 shown]
.long 0xD3D8401D, 0x18000106
.long 0xD3D84022, 0x18000103
	;; [unrolled: 1-line block ×3, first 2 shown]
.long 0xBF800001
.long 0xBF800000
	;; [unrolled: 1-line block ×11, first 2 shown]
.long 0xD0CC0038, 0x0001004A
.long 0xD100000E, 0x00E21CF2
.long 0xD100000F, 0x00E21EF2
.long 0xD3B14010, 0x1802210E
.long 0xD3A00010, 0x14421431
.long 0xD3A01011, 0x14461431
.long 0xD3B24010, 0x1802210C
.long 0xD10B0010, 0x00010110
.long 0xD10B0011, 0x00010111
.long 0x7E201510
.long 0x7E221511
.long 0xD2A00010, 0x00022310
.long 0xE070D000, 0x80031007
.long 0xBF800000
.long 0xD0CC0038, 0x0001004A
.long 0xD100000E, 0x00E21CF2
.long 0xD100000F, 0x00E21EF2
.long 0xD3B14016, 0x18022D0E
.long 0xD3A00016, 0x145A2831
.long 0xD3A01017, 0x145E2831
.long 0xD3B24016, 0x18022D0C
.long 0xD10B0016, 0x00010116
.long 0xD10B0017, 0x00010117
.long 0x7E2C1516
.long 0x7E2E1517
.long 0xD2A00016, 0x00022F16
.long 0xE070D000, 0x8003160B
.long 0xBF800000
	;; [unrolled: 14-line block ×4, first 2 shown]
.long 0xBF800000
.long 0xBF8203CC
.long 0x7E4202FF, 0x80000000
.long 0xD0C90054, 0x00003900
	;; [unrolled: 1-line block ×3, first 2 shown]
.long 0x86D85854
.long 0xD1FE0007, 0x02060102
.long 0xD1000007, 0x01620F21
	;; [unrolled: 1-line block ×5, first 2 shown]
.long 0x24101082
.long 0xD1000008, 0x01621121
.long 0xBF8CC07F
.long 0xBF8A0000
.long 0xD8EC0000, 0x0C000008
.long 0x24120082
.long 0xE0541000, 0x80120E09
.long 0xD1FE0007, 0x02060103
	;; [unrolled: 1-line block ×8, first 2 shown]
.long 0x86D85854
.long 0xD1FE000B, 0x02060102
.long 0xD100000B, 0x01621721
.long 0xE0501000, 0x8004140B
.long 0x925402FF, 0x00000080
.long 0xD1350012, 0x0000A900
.long 0x24242482
.long 0xD1000012, 0x01622521
.long 0x24260082
.long 0xD1FE000B, 0x02060103
.long 0xD100000B, 0x01621721
.long 0xD1196A01, 0x00010301
.long 0xD1340002, 0x00005502
.long 0xD1340003, 0x00005103
.long 0xD0C90054, 0x00003900
.long 0xD0C90058, 0x00003B01
.long 0x86D85854
.long 0xD1FE0015, 0x02060102
.long 0xD1000015, 0x01622B21
.long 0xE0501000, 0x80041A15
.long 0x925402FF, 0x00000080
.long 0xD1350018, 0x0000A900
.long 0x24303082
.long 0xD1000018, 0x01623121
.long 0x24320082
.long 0xD1FE0015, 0x02060103
.long 0xD1000015, 0x01622B21
.long 0xD1196A01, 0x00010301
.long 0xD1340002, 0x00005502
.long 0xD1340003, 0x00005103
.long 0xD0C90054, 0x00003900
.long 0xD0C90058, 0x00003B01
	;; [unrolled: 16-line block ×3, first 2 shown]
.long 0xD3D8401D, 0x18000106
.long 0xD3D84022, 0x18000103
	;; [unrolled: 1-line block ×3, first 2 shown]
.long 0xBF800001
.long 0xBF800000
	;; [unrolled: 1-line block ×11, first 2 shown]
.long 0xD0CC0038, 0x0001004A
.long 0xD100000E, 0x00E21CF2
.long 0xD100000F, 0x00E21EF2
.long 0xD3B14010, 0x1802210E
.long 0xD3A00010, 0x14421431
.long 0xD3A01011, 0x14461431
.long 0xD3B24010, 0x1802210C
.long 0x0A2020FF, 0xBFB8AA3B
.long 0x7E204110
.long 0xBF800000
.long 0x022020F2
.long 0x7E204510
.long 0xBF800000
.long 0x0A2222FF, 0xBFB8AA3B
.long 0x7E224111
.long 0xBF800000
.long 0x022222F2
.long 0x7E224511
.long 0xBF800000
.long 0x7E201510
.long 0x7E221511
.long 0xD2A00010, 0x00022310
.long 0xE070D000, 0x80031007
.long 0xBF800000
.long 0xD0CC0038, 0x0001004A
.long 0xD100000E, 0x00E21CF2
.long 0xD100000F, 0x00E21EF2
.long 0xD3B14016, 0x18022D0E
.long 0xD3A00016, 0x145A2831
.long 0xD3A01017, 0x145E2831
.long 0xD3B24016, 0x18022D0C
.long 0x0A2C2CFF, 0xBFB8AA3B
.long 0x7E2C4116
.long 0xBF800000
.long 0x022C2CF2
.long 0x7E2C4516
.long 0xBF800000
.long 0x0A2E2EFF, 0xBFB8AA3B
.long 0x7E2E4117
.long 0xBF800000
.long 0x022E2EF2
.long 0x7E2E4517
.long 0xBF800000
.long 0x7E2C1516
.long 0x7E2E1517
.long 0xD2A00016, 0x00022F16
.long 0xE070D000, 0x8003160B
.long 0xBF800000
	;; [unrolled: 24-line block ×4, first 2 shown]
.long 0xBF800000
.long 0xBF8202AD
.long 0x7E4202FF, 0x80000000
.long 0xD0C90054, 0x00003900
	;; [unrolled: 1-line block ×3, first 2 shown]
.long 0x86D85854
.long 0xD1FE0007, 0x02060102
.long 0xD1000007, 0x01620F21
	;; [unrolled: 1-line block ×5, first 2 shown]
.long 0x24101082
.long 0xD1000008, 0x01621121
.long 0xBF8CC07F
.long 0xBF8A0000
.long 0xD8EC0000, 0x0C000008
.long 0x24120082
.long 0xE0541000, 0x80120E09
.long 0xD1FE0007, 0x02060103
	;; [unrolled: 1-line block ×8, first 2 shown]
.long 0x86D85854
.long 0xD1FE000B, 0x02060102
.long 0xD100000B, 0x01621721
.long 0xE0501000, 0x8004140B
.long 0x925402FF, 0x00000080
.long 0xD1350012, 0x0000A900
.long 0x24242482
.long 0xD1000012, 0x01622521
.long 0x24260082
.long 0xD1FE000B, 0x02060103
.long 0xD100000B, 0x01621721
.long 0xD1196A01, 0x00010301
.long 0xD1340002, 0x00005502
.long 0xD1340003, 0x00005103
.long 0xD0C90054, 0x00003900
.long 0xD0C90058, 0x00003B01
.long 0x86D85854
.long 0xD1FE0015, 0x02060102
.long 0xD1000015, 0x01622B21
.long 0xE0501000, 0x80041A15
.long 0x925402FF, 0x00000080
.long 0xD1350018, 0x0000A900
.long 0x24303082
.long 0xD1000018, 0x01623121
.long 0x24320082
.long 0xD1FE0015, 0x02060103
.long 0xD1000015, 0x01622B21
.long 0xD1196A01, 0x00010301
.long 0xD1340002, 0x00005502
.long 0xD1340003, 0x00005103
.long 0xD0C90054, 0x00003900
.long 0xD0C90058, 0x00003B01
	;; [unrolled: 16-line block ×3, first 2 shown]
.long 0xD3D8401D, 0x18000106
.long 0xD3D84022, 0x18000103
	;; [unrolled: 1-line block ×3, first 2 shown]
.long 0xBF800001
.long 0xBF800000
	;; [unrolled: 1-line block ×11, first 2 shown]
.long 0xD0CC0038, 0x0001004A
.long 0xD100000E, 0x00E21CF2
.long 0xD100000F, 0x00E21EF2
.long 0xD3B14010, 0x1802210E
.long 0xD3A00010, 0x14421431
.long 0xD3A01011, 0x14461431
.long 0xD3B24010, 0x1802210C
.long 0x0A20203E
.long 0x0A2020FF, 0x4038AA3B
.long 0x7E204110
.long 0xBF800000
.long 0x022020F2
.long 0x7E204510
.long 0xBF800000
.long 0xD1CB0010, 0x03CA20F5
.long 0x0A20203F
.long 0x0A22223E
.long 0x0A2222FF, 0x4038AA3B
.long 0x7E224111
.long 0xBF800000
.long 0x022222F2
.long 0x7E224511
.long 0xBF800000
.long 0xD1CB0011, 0x03CA22F5
.long 0x0A22223F
.long 0x7E201510
.long 0x7E221511
.long 0xD2A00010, 0x00022310
.long 0xE070D000, 0x80031007
.long 0xBF800000
.long 0xD0CC0038, 0x0001004A
.long 0xD100000E, 0x00E21CF2
.long 0xD100000F, 0x00E21EF2
.long 0xD3B14016, 0x18022D0E
.long 0xD3A00016, 0x145A2831
.long 0xD3A01017, 0x145E2831
.long 0xD3B24016, 0x18022D0C
.long 0x0A2C2C3E
.long 0x0A2C2CFF, 0x4038AA3B
.long 0x7E2C4116
.long 0xBF800000
.long 0x022C2CF2
.long 0x7E2C4516
.long 0xBF800000
.long 0xD1CB0016, 0x03CA2CF5
.long 0x0A2C2C3F
.long 0x0A2E2E3E
.long 0x0A2E2EFF, 0x4038AA3B
.long 0x7E2E4117
.long 0xBF800000
.long 0x022E2EF2
.long 0x7E2E4517
.long 0xBF800000
.long 0xD1CB0017, 0x03CA2EF5
.long 0x0A2E2E3F
.long 0x7E2C1516
.long 0x7E2E1517
.long 0xD2A00016, 0x00022F16
.long 0xE070D000, 0x8003160B
.long 0xBF800000
	;; [unrolled: 30-line block ×4, first 2 shown]
.long 0xBF800000
.long 0xBF82016E
.long 0x7E4202FF, 0x80000000
.long 0xD0C90054, 0x00003900
	;; [unrolled: 1-line block ×3, first 2 shown]
.long 0x86D85854
.long 0xD1FE0007, 0x02060102
.long 0xD1000007, 0x01620F21
	;; [unrolled: 1-line block ×5, first 2 shown]
.long 0x24101082
.long 0xD1000008, 0x01621121
.long 0xBF8CC07F
.long 0xBF8A0000
.long 0xD8EC0000, 0x0C000008
.long 0x24120082
.long 0xE0541000, 0x80120E09
.long 0xD1FE0007, 0x02060103
.long 0xD1000007, 0x01620F21
.long 0xD1196A01, 0x00010301
.long 0xD1340002, 0x00005502
.long 0xD1340003, 0x00005103
.long 0xD0C90054, 0x00003900
.long 0xD0C90058, 0x00003B01
.long 0x86D85854
.long 0xD1FE000B, 0x02060102
.long 0xD100000B, 0x01621721
.long 0xE0501000, 0x8004140B
.long 0x925402FF, 0x00000080
.long 0xD1350012, 0x0000A900
.long 0x24242482
.long 0xD1000012, 0x01622521
.long 0x24260082
.long 0xD1FE000B, 0x02060103
.long 0xD100000B, 0x01621721
.long 0xD1196A01, 0x00010301
.long 0xD1340002, 0x00005502
.long 0xD1340003, 0x00005103
.long 0xD0C90054, 0x00003900
.long 0xD0C90058, 0x00003B01
.long 0x86D85854
.long 0xD1FE0015, 0x02060102
.long 0xD1000015, 0x01622B21
.long 0xE0501000, 0x80041A15
.long 0x925402FF, 0x00000080
.long 0xD1350018, 0x0000A900
.long 0x24303082
.long 0xD1000018, 0x01623121
.long 0x24320082
.long 0xD1FE0015, 0x02060103
.long 0xD1000015, 0x01622B21
.long 0xD1196A01, 0x00010301
.long 0xD1340002, 0x00005502
.long 0xD1340003, 0x00005103
.long 0xD0C90054, 0x00003900
.long 0xD0C90058, 0x00003B01
	;; [unrolled: 16-line block ×3, first 2 shown]
.long 0xD3D8401D, 0x18000106
.long 0xD3D84022, 0x18000103
	;; [unrolled: 1-line block ×3, first 2 shown]
.long 0xBF800001
.long 0xBF800000
	;; [unrolled: 1-line block ×11, first 2 shown]
.long 0xD0CC0038, 0x0001004A
.long 0xD100000E, 0x00E21CF2
.long 0xD100000F, 0x00E21EF2
.long 0xD3B14010, 0x1802210E
.long 0xD3A00010, 0x14421431
.long 0xD3A01011, 0x14461431
.long 0xD3B24010, 0x1802210C
.long 0x0A0820FF, 0x3D372713
.long 0xD1CB0004, 0x03CA0910
.long 0x0A080910
.long 0x0A0808FF, 0x40135761
.long 0x7E084104
.long 0xBF800000
.long 0x020808F2
.long 0x7E084504
.long 0xBF800000
.long 0xD1CB0004, 0x03D208F5
.long 0x0A080910
.long 0x0A0808F0
.long 0x0A20083E
.long 0x0A0822FF, 0x3D372713
.long 0xD1CB0004, 0x03CA0911
.long 0x0A080911
.long 0x0A0808FF, 0x40135761
.long 0x7E084104
.long 0xBF800000
.long 0x020808F2
.long 0x7E084504
.long 0xBF800000
.long 0xD1CB0004, 0x03D208F5
.long 0x0A080911
.long 0x0A0808F0
.long 0x0A22083E
.long 0x7E201510
.long 0x7E221511
.long 0xD2A00010, 0x00022310
.long 0xE070D000, 0x80031007
.long 0xBF800000
.long 0xD0CC0038, 0x0001004A
.long 0xD100000E, 0x00E21CF2
.long 0xD100000F, 0x00E21EF2
.long 0xD3B14016, 0x18022D0E
.long 0xD3A00016, 0x145A2831
.long 0xD3A01017, 0x145E2831
.long 0xD3B24016, 0x18022D0C
.long 0x0A082CFF, 0x3D372713
.long 0xD1CB0004, 0x03CA0916
.long 0x0A080916
.long 0x0A0808FF, 0x40135761
.long 0x7E084104
.long 0xBF800000
.long 0x020808F2
.long 0x7E084504
.long 0xBF800000
.long 0xD1CB0004, 0x03D208F5
.long 0x0A080916
.long 0x0A0808F0
.long 0x0A2C083E
.long 0x0A082EFF, 0x3D372713
.long 0xD1CB0004, 0x03CA0917
.long 0x0A080917
.long 0x0A0808FF, 0x40135761
.long 0x7E084104
.long 0xBF800000
.long 0x020808F2
.long 0x7E084504
.long 0xBF800000
.long 0xD1CB0004, 0x03D208F5
.long 0x0A080917
.long 0x0A0808F0
.long 0x0A2E083E
.long 0x7E2C1516
.long 0x7E2E1517
.long 0xD2A00016, 0x00022F16
.long 0xE070D000, 0x8003160B
.long 0xBF800000
	;; [unrolled: 38-line block ×4, first 2 shown]
.long 0xBF800000
.long 0xBF820000
	;; [unrolled: 1-line block ×3, first 2 shown]
